;; amdgpu-corpus repo=ROCm/aiter kind=harvested arch=n/a opt=n/a

/root/src/amdgpu-assembly/repos/ROCm__aiter/hsa/gfx942/fmoe/gelu/fmoe_bf16_blockscaleFp8_g1u1_vs_gelu_1tg_psx_64x256.co:	file format elf64-amdgpu

Disassembly of section .text:

0000000000002e00 <_ZN5aiter46fmoe_bf16_blockscaleFp8_g1u1_vs_ps_gelu_64x256E>:
	v_lshrrev_b32_e32 v1, 10, v0                               // 000000002E00: 2002008A
	v_lshrrev_b32_e32 v2, 10, v1                               // 000000002E04: 2004028A
	v_and_b32_e32 v2, 0x3ff, v2                                // 000000002E08: 260404FF 000003FF
	v_and_b32_e32 v1, 0x3ff, v1                                // 000000002E10: 260202FF 000003FF
	v_and_b32_e32 v0, 0x3ff, v0                                // 000000002E18: 260000FF 000003FF
	v_lshrrev_b32_e32 v3, 6, v0                                // 000000002E20: 20060086
	v_and_b32_e32 v0, 63, v0                                   // 000000002E24: 260000BF
	s_mov_b32 s2, s2                                           // 000000002E28: BE820002
	s_mov_b32 s3, s3                                           // 000000002E2C: BE830003
	s_mov_b32 s4, s4                                           // 000000002E30: BE840004
	s_mov_b32 s100, s2                                         // 000000002E34: BEE40002
	v_readfirstlane_b32 s7, v3                                 // 000000002E38: 7E0E0503
	s_and_b32 s1, s1, 0xffff                                   // 000000002E3C: 8601FF01 0000FFFF
	s_mov_b32 s20, 0                                           // 000000002E44: BE940080
	s_mov_b32 s59, 0                                           // 000000002E48: BEBB0080
	s_mov_b32 s101, 0                                          // 000000002E4C: BEE50080
	s_load_dword s20, s[0:1], 0x1a0                            // 000000002E50: C0020500 000001A0
	s_load_dword s59, s[0:1], 0x1b0                            // 000000002E58: C0020EC0 000001B0
	s_waitcnt lgkmcnt(0)                                       // 000000002E60: BF8CC07F
	s_cmp_eq_u32 s20, 0                                        // 000000002E64: BF068014
	s_cbranch_scc1 label_0062                                  // 000000002E68: BF850047
	v_cvt_f32_u32_e32 v60, s59                                 // 000000002E6C: 7E780C3B
	s_sub_i32 s56, 0, s59                                      // 000000002E70: 81B83B80
	v_rcp_iflag_f32_e32 v60, v60                               // 000000002E74: 7E78473C
	s_nop 0                                                    // 000000002E78: BF800000
	v_mul_f32_e32 v60, 0x4f7ffffe, v60                         // 000000002E7C: 0A7878FF 4F7FFFFE
	v_cvt_u32_f32_e32 v60, v60                                 // 000000002E84: 7E780F3C
	v_mul_lo_u32 v61, s56, v60                                 // 000000002E88: D285003D 00027838
	v_mul_hi_u32 v61, v60, v61                                 // 000000002E90: D286003D 00027B3C
	v_add_u32_e32 v60, v60, v61                                // 000000002E98: 68787B3C
	v_mul_hi_u32 v60, s20, v60                                 // 000000002E9C: D286003C 00027814
	v_mul_lo_u32 v61, v60, s59                                 // 000000002EA4: D285003D 0000773C
	v_sub_u32_e32 v63, s20, v61                                // 000000002EAC: 6A7E7A14
	v_add_u32_e32 v62, 1, v60                                  // 000000002EB0: 687C7881
	v_cmp_le_u32_e32 vcc, s59, v63                             // 000000002EB4: 7D967E3B
	v_subrev_u32_e32 v61, s59, v63                             // 000000002EB8: 6C7A7E3B
	s_nop 0                                                    // 000000002EBC: BF800000
	v_cndmask_b32_e32 v60, v60, v62, vcc                       // 000000002EC0: 00787D3C
	v_cndmask_b32_e32 v63, v63, v61, vcc                       // 000000002EC4: 007E7B3F
	v_add_u32_e32 v61, 1, v60                                  // 000000002EC8: 687A7881
	v_cmp_le_u32_e32 vcc, s59, v63                             // 000000002ECC: 7D967E3B
	s_nop 1                                                    // 000000002ED0: BF800001
	v_cndmask_b32_e32 v63, v60, v61, vcc                       // 000000002ED4: 007E7B3C
	s_nop 3                                                    // 000000002ED8: BF800003
	v_readfirstlane_b32 s73, v63                               // 000000002EDC: 7E92053F
	s_nop 3                                                    // 000000002EE0: BF800003

0000000000002ee4 <label_0039>:
	s_mov_b32 s4, 1                                            // 000000002EE4: BE840081
	s_and_b32 s57, s100, 7                                     // 000000002EE8: 86398764
	s_lshr_b32 s58, s100, 3                                    // 000000002EEC: 8F3A8364
	s_mul_i32 s56, s73, s59                                    // 000000002EF0: 92383B49
	s_lshr_b32 s56, s56, 3                                     // 000000002EF4: 8F388338
	s_mul_i32 s57, s57, s56                                    // 000000002EF8: 92393839
	s_add_u32 s58, s57, s58                                    // 000000002EFC: 803A3A39
	v_cvt_f32_u32_e32 v60, s59                                 // 000000002F00: 7E780C3B
	s_sub_i32 s56, 0, s59                                      // 000000002F04: 81B83B80
	v_rcp_iflag_f32_e32 v60, v60                               // 000000002F08: 7E78473C
	s_nop 0                                                    // 000000002F0C: BF800000
	v_mul_f32_e32 v60, 0x4f7ffffe, v60                         // 000000002F10: 0A7878FF 4F7FFFFE
	v_cvt_u32_f32_e32 v60, v60                                 // 000000002F18: 7E780F3C
	v_mul_lo_u32 v61, s56, v60                                 // 000000002F1C: D285003D 00027838
	v_mul_hi_u32 v61, v60, v61                                 // 000000002F24: D286003D 00027B3C
	v_add_u32_e32 v60, v60, v61                                // 000000002F2C: 68787B3C
	v_mul_hi_u32 v60, s58, v60                                 // 000000002F30: D286003C 0002783A
	v_mul_lo_u32 v61, v60, s59                                 // 000000002F38: D285003D 0000773C
	v_sub_u32_e32 v63, s58, v61                                // 000000002F40: 6A7E7A3A
	v_add_u32_e32 v62, 1, v60                                  // 000000002F44: 687C7881
	v_cmp_le_u32_e32 vcc, s59, v63                             // 000000002F48: 7D967E3B
	v_subrev_u32_e32 v61, s59, v63                             // 000000002F4C: 6C7A7E3B
	s_nop 0                                                    // 000000002F50: BF800000
	v_cndmask_b32_e32 v60, v60, v62, vcc                       // 000000002F54: 00787D3C
	v_cndmask_b32_e32 v63, v63, v61, vcc                       // 000000002F58: 007E7B3F
	v_add_u32_e32 v61, 1, v60                                  // 000000002F5C: 687A7881
	v_cmp_le_u32_e32 vcc, s59, v63                             // 000000002F60: 7D967E3B
	s_nop 1                                                    // 000000002F64: BF800001
	v_cndmask_b32_e32 v63, v60, v61, vcc                       // 000000002F68: 007E7B3C
	s_nop 3                                                    // 000000002F6C: BF800003
	v_readfirstlane_b32 s3, v63                                // 000000002F70: 7E06053F
	s_nop 3                                                    // 000000002F74: BF800003
	s_mul_i32 s56, s3, s59                                     // 000000002F78: 92383B03
	s_sub_u32 s2, s58, s56                                     // 000000002F7C: 8082383A
	s_mul_i32 s56, s73, s101                                   // 000000002F80: 92386549
	s_add_i32 s3, s3, s56                                      // 000000002F84: 81033803

0000000000002f88 <label_0062>:
	s_and_b32 s1, s1, 0xffff                                   // 000000002F88: 8601FF01 0000FFFF
	s_load_dwordx2 s[8:9], s[0:1], 0x0                         // 000000002F90: C0060200 00000000
	s_load_dwordx2 s[20:21], s[0:1], 0x10                      // 000000002F98: C0060500 00000010
	s_load_dwordx2 s[24:25], s[0:1], 0x20                      // 000000002FA0: C0060600 00000020
	s_load_dwordx2 s[50:51], s[0:1], 0x30                      // 000000002FA8: C0060C80 00000030
	s_load_dwordx2 s[12:13], s[0:1], 0x40                      // 000000002FB0: C0060300 00000040
	s_load_dwordx2 s[28:29], s[0:1], 0x50                      // 000000002FB8: C0060700 00000050
	s_load_dwordx2 s[32:33], s[0:1], 0x60                      // 000000002FC0: C0060800 00000060
	s_load_dwordx2 s[16:17], s[0:1], 0x70                      // 000000002FC8: C0060400 00000070
	s_load_dwordx2 s[36:37], s[0:1], 0x80                      // 000000002FD0: C0060900 00000080
	s_load_dwordx2 s[44:45], s[0:1], 0x90                      // 000000002FD8: C0060B00 00000090
	s_load_dwordx2 s[40:41], s[0:1], 0xa0                      // 000000002FE0: C0060A00 000000A0
	s_load_dwordx2 s[46:47], s[0:1], 0xb0                      // 000000002FE8: C0060B80 000000B0
	s_load_dword s60, s[0:1], 0xc0                             // 000000002FF0: C0020F00 000000C0
	s_load_dword s61, s[0:1], 0xd0                             // 000000002FF8: C0020F40 000000D0
	s_load_dword s63, s[0:1], 0xf0                             // 000000003000: C0020FC0 000000F0
	s_load_dword s64, s[0:1], 0x100                            // 000000003008: C0021000 00000100
	s_load_dword s65, s[0:1], 0x110                            // 000000003010: C0021040 00000110
	s_load_dword s66, s[0:1], 0x120                            // 000000003018: C0021080 00000120
	s_load_dword s67, s[0:1], 0x130                            // 000000003020: C00210C0 00000130
	s_load_dword s68, s[0:1], 0x140                            // 000000003028: C0021100 00000140
	s_load_dword s69, s[0:1], 0x150                            // 000000003030: C0021140 00000150
	s_load_dword s70, s[0:1], 0x160                            // 000000003038: C0021180 00000160
	s_load_dword s71, s[0:1], 0x170                            // 000000003040: C00211C0 00000170
	s_load_dword s72, s[0:1], 0x180                            // 000000003048: C0021200 00000180
	s_mov_b32 s2, s2                                           // 000000003050: BE820002
	s_mov_b32 s3, s3                                           // 000000003054: BE830003
	s_mov_b32 s4, s4                                           // 000000003058: BE840004
	s_waitcnt lgkmcnt(0)                                       // 00000000305C: BF8CC07F
	s_and_b32 s51, s51, 0xffff                                 // 000000003060: 8633FF33 0000FFFF
	s_load_dword s62, s[50:51], 0x4                            // 000000003068: C0020F99 00000004
	s_load_dword s50, s[50:51], 0x0                            // 000000003070: C0020C99 00000000
	s_waitcnt lgkmcnt(0)                                       // 000000003078: BF8CC07F
	s_and_b32 s45, s45, 0xffff                                 // 00000000307C: 862DFF2D 0000FFFF
	s_and_b32 s47, s47, 0xffff                                 // 000000003084: 862FFF2F 0000FFFF
	s_and_b32 s9, s9, 0xffff                                   // 00000000308C: 8609FF09 0000FFFF
	s_mul_i32 s56, s62, s64                                    // 000000003094: 9238403E
	s_mul_i32 s57, s62, 4                                      // 000000003098: 9239843E
	s_mov_b32 s22, s56                                         // 00000000309C: BE960038
	s_mov_b32 s26, -16                                         // 0000000030A0: BE9A00D0
	s_mov_b32 s14, -16                                         // 0000000030A4: BE8E00D0
	s_mov_b32 s42, -16                                         // 0000000030A8: BEAA00D0
	s_mov_b32 s30, -16                                         // 0000000030AC: BE9E00D0
	s_mov_b32 s34, -16                                         // 0000000030B0: BEA200D0
	s_mov_b32 s38, -16                                         // 0000000030B4: BEA600D0
	s_mov_b32 s18, -16                                         // 0000000030B8: BE9200D0
	s_mov_b32 s23, 0x20000                                     // 0000000030BC: BE9700FF 00020000
	s_mov_b32 s27, 0x20000                                     // 0000000030C4: BE9B00FF 00020000
	s_mov_b32 s15, 0x20000                                     // 0000000030CC: BE8F00FF 00020000
	s_mov_b32 s43, 0x20000                                     // 0000000030D4: BEAB00FF 00020000
	s_mov_b32 s31, 0x20000                                     // 0000000030DC: BE9F00FF 00020000
	s_mov_b32 s35, 0x20000                                     // 0000000030E4: BEA300FF 00020000
	s_mov_b32 s39, 0x20000                                     // 0000000030EC: BEA700FF 00020000
	s_mov_b32 s19, 0x20000                                     // 0000000030F4: BE9300FF 00020000
	s_and_b32 s21, s21, 0xffff                                 // 0000000030FC: 8615FF15 0000FFFF
	s_and_b32 s25, s25, 0xffff                                 // 000000003104: 8619FF19 0000FFFF
	s_and_b32 s13, s13, 0xffff                                 // 00000000310C: 860DFF0D 0000FFFF
	s_and_b32 s41, s41, 0xffff                                 // 000000003114: 8629FF29 0000FFFF
	s_and_b32 s29, s29, 0xffff                                 // 00000000311C: 861DFF1D 0000FFFF
	s_and_b32 s33, s33, 0xffff                                 // 000000003124: 8621FF21 0000FFFF
	s_and_b32 s37, s37, 0xffff                                 // 00000000312C: 8625FF25 0000FFFF
	s_and_b32 s17, s17, 0xffff                                 // 000000003134: 8611FF11 0000FFFF
	s_or_b32 s21, s21, 0x40000                                 // 00000000313C: 8715FF15 00040000
	s_or_b32 s25, s25, 0x40000                                 // 000000003144: 8719FF19 00040000
	s_or_b32 s13, s13, 0x40000                                 // 00000000314C: 870DFF0D 00040000
	s_or_b32 s41, s41, 0x40000                                 // 000000003154: 8729FF29 00040000
	s_or_b32 s29, s29, 0x40000                                 // 00000000315C: 871DFF1D 00040000
	s_or_b32 s33, s33, 0x40000                                 // 000000003164: 8721FF21 00040000
	s_or_b32 s37, s37, 0x40000                                 // 00000000316C: 8725FF25 00040000
	s_or_b32 s17, s17, 0x40000                                 // 000000003174: 8711FF11 00040000
	v_accvgpr_write_b32 a255, 0                                // 00000000317C: D3D940FF 18000080
	v_mov_b32_e32 v255, 0                                      // 000000003184: 7FFE0280
	s_waitcnt lgkmcnt(0)                                       // 000000003188: BF8CC07F
	s_mul_i32 s56, s3, 64                                      // 00000000318C: 9238C003
	s_cmp_lt_i32 s56, s50                                      // 000000003190: BF043238
	s_cbranch_scc0 label_371B                                  // 000000003194: BF843635
	s_mov_b32 s76, 0                                           // 000000003198: BECC0080
	s_mov_b32 s77, s60                                         // 00000000319C: BECD003C
	s_mul_i32 s56, s3, 4                                       // 0000000031A0: 92388403
	s_add_u32 s46, s56, s46                                    // 0000000031A4: 802E2E38
	s_addc_u32 s47, 0, s47                                     // 0000000031A8: 822F2F80
	s_load_dword s5, s[46:47], 0x0                             // 0000000031AC: C0020157 00000000
	s_mul_i32 s56, s3, 64                                      // 0000000031B4: 9238C003
	s_mul_i32 s56, 4, s56                                      // 0000000031B8: 92383884
	v_and_b32_e32 v60, 15, v0                                  // 0000000031BC: 2678008F
	v_lshlrev_b32_e32 v60, 2, v60                              // 0000000031C0: 24787882
	v_add_u32_e32 v60, s56, v60                                // 0000000031C4: 68787838
	global_load_dword v9, v60, s[44:45]                        // 0000000031C8: DC508000 092C003C
	v_add_u32_e32 v60, 64, v60                                 // 0000000031D0: 687878C0
	global_load_dword v10, v60, s[44:45]                       // 0000000031D4: DC508000 0A2C003C
	v_add_u32_e32 v60, 64, v60                                 // 0000000031DC: 687878C0
	global_load_dword v11, v60, s[44:45]                       // 0000000031E0: DC508000 0B2C003C
	v_add_u32_e32 v60, 64, v60                                 // 0000000031E8: 687878C0
	global_load_dword v12, v60, s[44:45]                       // 0000000031EC: DC508000 0C2C003C
	s_mul_i32 s56, s3, 64                                      // 0000000031F4: 9238C003
	s_add_u32 s56, s7, s56                                     // 0000000031F8: 80383807
	s_mul_i32 s56, 4, s56                                      // 0000000031FC: 92383884
	s_add_u32 s44, s56, s44                                    // 000000003200: 802C2C38
	s_addc_u32 s45, 0, s45                                     // 000000003204: 822D2D80
	s_load_dword s78, s[44:45], 0x0                            // 000000003208: C0021396 00000000
	s_load_dword s79, s[44:45], 0x10                           // 000000003210: C00213D6 00000010
	s_load_dword s80, s[44:45], 0x20                           // 000000003218: C0021416 00000020
	s_load_dword s81, s[44:45], 0x30                           // 000000003220: C0021456 00000030
	s_load_dword s82, s[44:45], 0x40                           // 000000003228: C0021496 00000040
	s_load_dword s83, s[44:45], 0x50                           // 000000003230: C00214D6 00000050
	s_load_dword s84, s[44:45], 0x60                           // 000000003238: C0021516 00000060
	s_load_dword s85, s[44:45], 0x70                           // 000000003240: C0021556 00000070
	s_load_dword s86, s[44:45], 0x80                           // 000000003248: C0021596 00000080
	s_load_dword s87, s[44:45], 0x90                           // 000000003250: C00215D6 00000090
	s_load_dword s88, s[44:45], 0xa0                           // 000000003258: C0021616 000000A0
	s_load_dword s89, s[44:45], 0xb0                           // 000000003260: C0021656 000000B0
	s_load_dword s90, s[44:45], 0xc0                           // 000000003268: C0021696 000000C0
	s_load_dword s91, s[44:45], 0xd0                           // 000000003270: C00216D6 000000D0
	s_load_dword s92, s[44:45], 0xe0                           // 000000003278: C0021716 000000E0
	s_load_dword s93, s[44:45], 0xf0                           // 000000003280: C0021756 000000F0
	s_waitcnt lgkmcnt(0)                                       // 000000003288: BF8CC07F
	v_lshlrev_b32_e32 v60, 2, v0                               // 00000000328C: 24780082
	s_and_b32 s78, s78, 0xffffff                               // 000000003290: 864EFF4E 00FFFFFF
	s_mul_i32 s56, s78, s64                                    // 000000003298: 9238404E
	v_add_u32_e64 v43, v60, s56                                // 00000000329C: D134002B 0000713C
	s_and_b32 s79, s79, 0xffffff                               // 0000000032A4: 864FFF4F 00FFFFFF
	s_mul_i32 s56, s79, s64                                    // 0000000032AC: 9238404F
	v_add_u32_e64 v44, v60, s56                                // 0000000032B0: D134002C 0000713C
	s_and_b32 s80, s80, 0xffffff                               // 0000000032B8: 8650FF50 00FFFFFF
	s_mul_i32 s56, s80, s64                                    // 0000000032C0: 92384050
	s_and_b32 s81, s81, 0xffffff                               // 0000000032C4: 8651FF51 00FFFFFF
	s_mul_i32 s56, s81, s64                                    // 0000000032CC: 92384051
	s_and_b32 s82, s82, 0xffffff                               // 0000000032D0: 8652FF52 00FFFFFF
	s_mul_i32 s56, s82, s64                                    // 0000000032D8: 92384052
	s_and_b32 s83, s83, 0xffffff                               // 0000000032DC: 8653FF53 00FFFFFF
	s_mul_i32 s56, s83, s64                                    // 0000000032E4: 92384053
	s_and_b32 s84, s84, 0xffffff                               // 0000000032E8: 8654FF54 00FFFFFF
	s_mul_i32 s56, s84, s64                                    // 0000000032F0: 92384054
	s_and_b32 s85, s85, 0xffffff                               // 0000000032F4: 8655FF55 00FFFFFF
	s_mul_i32 s56, s85, s64                                    // 0000000032FC: 92384055
	s_and_b32 s86, s86, 0xffffff                               // 000000003300: 8656FF56 00FFFFFF
	s_mul_i32 s56, s86, s64                                    // 000000003308: 92384056
	s_and_b32 s87, s87, 0xffffff                               // 00000000330C: 8657FF57 00FFFFFF
	s_mul_i32 s56, s87, s64                                    // 000000003314: 92384057
	s_and_b32 s88, s88, 0xffffff                               // 000000003318: 8658FF58 00FFFFFF
	s_mul_i32 s56, s88, s64                                    // 000000003320: 92384058
	s_and_b32 s89, s89, 0xffffff                               // 000000003324: 8659FF59 00FFFFFF
	s_mul_i32 s56, s89, s64                                    // 00000000332C: 92384059
	s_and_b32 s90, s90, 0xffffff                               // 000000003330: 865AFF5A 00FFFFFF
	s_mul_i32 s56, s90, s64                                    // 000000003338: 9238405A
	s_and_b32 s91, s91, 0xffffff                               // 00000000333C: 865BFF5B 00FFFFFF
	s_mul_i32 s56, s91, s64                                    // 000000003344: 9238405B
	s_and_b32 s92, s92, 0xffffff                               // 000000003348: 865CFF5C 00FFFFFF
	s_mul_i32 s56, s92, s64                                    // 000000003350: 9238405C
	s_and_b32 s93, s93, 0xffffff                               // 000000003354: 865DFF5D 00FFFFFF
	s_mul_i32 s56, s93, s64                                    // 00000000335C: 9238405D
	v_lshlrev_b32_e32 v60, 2, v0                               // 000000003360: 24780082
	s_mul_i32 s56, s78, s67                                    // 000000003364: 9238434E
	v_add_u32_e64 v96, v60, s56                                // 000000003368: D1340060 0000713C
	v_mov_b32_e32 v97, 0                                       // 000000003370: 7EC20280
	s_mul_i32 s56, s79, s67                                    // 000000003374: 9238434F
	v_add_u32_e64 v98, v60, s56                                // 000000003378: D1340062 0000713C
	v_mov_b32_e32 v99, 0                                       // 000000003380: 7EC60280
	s_mul_i32 s56, s80, s67                                    // 000000003384: 92384350
	v_add_u32_e64 v100, v60, s56                               // 000000003388: D1340064 0000713C
	v_mov_b32_e32 v101, 0                                      // 000000003390: 7ECA0280
	s_mul_i32 s56, s81, s67                                    // 000000003394: 92384351
	v_add_u32_e64 v102, v60, s56                               // 000000003398: D1340066 0000713C
	v_mov_b32_e32 v103, 0                                      // 0000000033A0: 7ECE0280
	s_mul_i32 s56, s82, s67                                    // 0000000033A4: 92384352
	v_add_u32_e64 v104, v60, s56                               // 0000000033A8: D1340068 0000713C
	v_mov_b32_e32 v105, 0                                      // 0000000033B0: 7ED20280
	s_mul_i32 s56, s83, s67                                    // 0000000033B4: 92384353
	v_add_u32_e64 v106, v60, s56                               // 0000000033B8: D134006A 0000713C
	v_mov_b32_e32 v107, 0                                      // 0000000033C0: 7ED60280
	s_mul_i32 s56, s84, s67                                    // 0000000033C4: 92384354
	v_add_u32_e64 v108, v60, s56                               // 0000000033C8: D134006C 0000713C
	v_mov_b32_e32 v109, 0                                      // 0000000033D0: 7EDA0280
	s_mul_i32 s56, s85, s67                                    // 0000000033D4: 92384355
	v_add_u32_e64 v110, v60, s56                               // 0000000033D8: D134006E 0000713C
	v_mov_b32_e32 v111, 0                                      // 0000000033E0: 7EDE0280
	s_mul_i32 s56, s86, s67                                    // 0000000033E4: 92384356
	v_add_u32_e64 v112, v60, s56                               // 0000000033E8: D1340070 0000713C
	v_mov_b32_e32 v113, 0                                      // 0000000033F0: 7EE20280
	s_mul_i32 s56, s87, s67                                    // 0000000033F4: 92384357
	v_add_u32_e64 v114, v60, s56                               // 0000000033F8: D1340072 0000713C
	v_mov_b32_e32 v115, 0                                      // 000000003400: 7EE60280
	s_mul_i32 s56, s88, s67                                    // 000000003404: 92384358
	v_add_u32_e64 v116, v60, s56                               // 000000003408: D1340074 0000713C
	v_mov_b32_e32 v117, 0                                      // 000000003410: 7EEA0280
	s_mul_i32 s56, s89, s67                                    // 000000003414: 92384359
	v_add_u32_e64 v118, v60, s56                               // 000000003418: D1340076 0000713C
	v_mov_b32_e32 v119, 0                                      // 000000003420: 7EEE0280
	s_mul_i32 s56, s90, s67                                    // 000000003424: 9238435A
	v_add_u32_e64 v120, v60, s56                               // 000000003428: D1340078 0000713C
	v_mov_b32_e32 v121, 0                                      // 000000003430: 7EF20280
	s_mul_i32 s56, s91, s67                                    // 000000003434: 9238435B
	v_add_u32_e64 v122, v60, s56                               // 000000003438: D134007A 0000713C
	v_mov_b32_e32 v123, 0                                      // 000000003440: 7EF60280
	s_mul_i32 s56, s92, s67                                    // 000000003444: 9238435C
	v_add_u32_e64 v124, v60, s56                               // 000000003448: D134007C 0000713C
	v_mov_b32_e32 v125, 0                                      // 000000003450: 7EFA0280
	s_mul_i32 s56, s93, s67                                    // 000000003454: 9238435D
	v_add_u32_e64 v126, v60, s56                               // 000000003458: D134007E 0000713C
	v_mov_b32_e32 v127, 0                                      // 000000003460: 7EFE0280
	s_mul_i32 s56, s7, 0x1020                                  // 000000003464: 9238FF07 00001020
	s_add_u32 s48, 0, s56                                      // 00000000346C: 80303880
	s_add_u32 s49, 0x4880, s48                                 // 000000003470: 803130FF 00004880
	v_lshrrev_b32_e32 v60, 4, v0                               // 000000003478: 20780084
	v_lshlrev_b32_e32 v61, 2, v60                              // 00000000347C: 247A7882
	v_and_b32_e32 v60, 15, v0                                  // 000000003480: 2678008F
	v_lshrrev_b32_e32 v62, 2, v60                              // 000000003484: 207C7882
	v_lshlrev_b32_e32 v62, 6, v62                              // 000000003488: 247C7C86
	v_add_u32_e32 v61, v62, v61                                // 00000000348C: 687A7B3E
	v_and_b32_e32 v60, 3, v0                                   // 000000003490: 26780083
	v_mul_i32_i24_e32 v62, 0x408, v60                          // 000000003494: 0C7C78FF 00000408
	v_add_u32_e32 v61, v62, v61                                // 00000000349C: 687A7B3E
	v_lshlrev_b32_e32 v2, 2, v61                               // 0000000034A0: 24047A82
	s_mul_i32 s56, s2, 0x100                                   // 0000000034A4: 9238FF02 00000100
	s_mul_i32 s56, s56, s65                                    // 0000000034AC: 92384138
	s_mul_i32 s57, s5, s68                                     // 0000000034B0: 92394405
	s_add_u32 s56, s57, s56                                    // 0000000034B4: 80383839
	s_add_u32 s24, s56, s24                                    // 0000000034B8: 80181838
	s_addc_u32 s25, 0, s25                                     // 0000000034BC: 82191980
	s_mul_i32 s56, s7, 16                                      // 0000000034C0: 92389007
	s_mul_i32 s56, s56, s65                                    // 0000000034C4: 92384138
	v_lshlrev_b32_e32 v47, 4, v0                               // 0000000034C8: 245E0084
	v_add_u32_e32 v47, s56, v47                                // 0000000034CC: 685E5E38
	s_mul_i32 s56, 64, s65                                     // 0000000034D0: 923841C0
	v_add_u32_e32 v48, s56, v47                                // 0000000034D4: 68605E38
	v_add_u32_e32 v49, s56, v48                                // 0000000034D8: 68626038
	v_add_u32_e32 v50, s56, v49                                // 0000000034DC: 68646238
	s_mov_b32 s96, s24                                         // 0000000034E0: BEE00018
	s_mov_b32 s97, s25                                         // 0000000034E4: BEE10019
	s_mov_b32 s98, s26                                         // 0000000034E8: BEE2001A
	s_mov_b32 s99, s27                                         // 0000000034EC: BEE3001B
	s_mul_i32 s56, s65, s61                                    // 0000000034F0: 92383D41
	s_add_u32 s96, s56, s96                                    // 0000000034F4: 80606038
	s_addc_u32 s97, 0, s97                                     // 0000000034F8: 82616180
	s_mul_i32 s56, s2, 0x1000                                  // 0000000034FC: 9238FF02 00001000
	s_mul_i32 s57, s5, s69                                     // 000000003504: 92394505
	s_add_u32 s56, s57, s56                                    // 000000003508: 80383839
	s_add_u32 s12, s56, s12                                    // 00000000350C: 800C0C38
	s_addc_u32 s13, 0, s13                                     // 000000003510: 820D0D80
	s_mul_i32 s56, s7, 16                                      // 000000003514: 92389007
	s_mul_i32 s56, s56, s66                                    // 000000003518: 92384238
	v_lshlrev_b32_e32 v51, 4, v0                               // 00000000351C: 24660084
	v_add_u32_e32 v51, s56, v51                                // 000000003520: 68666638
	s_mul_i32 s56, 64, s66                                     // 000000003524: 923842C0
	v_add_u32_e32 v52, s56, v51                                // 000000003528: 68686638
	v_add_u32_e32 v53, s56, v52                                // 00000000352C: 686A6838
	v_add_u32_e32 v54, s56, v53                                // 000000003530: 686C6A38
	s_mul_i32 s56, s66, 0x100                                  // 000000003534: 9238FF42 00000100
	s_mov_b32 s74, 0x400                                       // 00000000353C: BECA00FF 00000400
	s_mul_i32 s57, s74, 3                                      // 000000003544: 9239834A
	s_sub_u32 s52, s56, s57                                    // 000000003548: 80B43938
	s_mul_i32 s56, s3, 64                                      // 00000000354C: 9238C003
	s_mul_i32 s56, 4, s56                                      // 000000003550: 92383884
	s_add_u32 s40, s56, s40                                    // 000000003554: 80282838
	s_addc_u32 s41, 0, s41                                     // 000000003558: 82292980
	v_and_b32_e32 v60, 15, v0                                  // 00000000355C: 2678008F
	v_lshlrev_b32_e32 v13, 2, v60                              // 000000003560: 241A7882
	v_add_u32_e32 v14, 64, v13                                 // 000000003564: 681C1AC0
	v_add_u32_e32 v15, 64, v14                                 // 000000003568: 681E1CC0
	v_add_u32_e32 v16, 64, v15                                 // 00000000356C: 68201EC0
	s_lshr_b32 s56, s60, 7                                     // 000000003570: 8F38873C
	s_mul_i32 s57, s56, 4                                      // 000000003574: 92398438
	v_and_b32_e64 v17, v0, 1                                   // 000000003578: D1130011 00010300
	v_mul_i32_i24_e64 v17, v17, s57                            // 000000003580: D1060011 00007311
	v_and_b32_e64 v60, v0, 3                                   // 000000003588: D113003C 00010700
	v_lshrrev_b32_e32 v60, 1, v60                              // 000000003590: 20787881
	v_mul_i32_i24_e32 v60, 4, v60                              // 000000003594: 0C787884
	v_add_u32_e32 v17, v17, v60                                // 000000003598: 68227911
	s_lshr_b32 s56, s61, 7                                     // 00000000359C: 8F38873D
	s_mul_i32 s56, s56, s57                                    // 0000000035A0: 92383938
	v_add_u32_e64 v19, v17, s56                                // 0000000035A4: D1340013 00007111
	s_mov_b32 s4, 8                                            // 0000000035AC: BE840088
	s_mul_i32 s56, s2, 2                                       // 0000000035B0: 92388202
	s_mul_i32 s56, s56, s57                                    // 0000000035B4: 92383938
	s_mul_i32 s57, s5, s70                                     // 0000000035B8: 92394605
	s_add_u32 s57, s57, s56                                    // 0000000035BC: 80393839
	s_add_u32 s32, s57, s32                                    // 0000000035C0: 80202039
	s_addc_u32 s33, 0, s33                                     // 0000000035C4: 82212180
	s_lshr_b32 s56, s61, 7                                     // 0000000035C8: 8F38873D
	s_mul_i32 s57, s56, 4                                      // 0000000035CC: 92398438
	s_mul_i32 s56, s2, 2                                       // 0000000035D0: 92388202
	s_mul_i32 s56, s56, 4                                      // 0000000035D4: 92388438
	v_and_b32_e64 v8, v0, 1                                    // 0000000035D8: D1130008 00010300
	v_mul_i32_i24_e64 v8, v8, s57                              // 0000000035E0: D1060008 00007308
	v_and_b32_e64 v60, v0, 3                                   // 0000000035E8: D113003C 00010700
	v_lshrrev_b32_e32 v60, 1, v60                              // 0000000035F0: 20787881
	v_mul_i32_i24_e32 v60, 4, v60                              // 0000000035F4: 0C787884
	v_add_i32 v8, v8, v60                                      // 0000000035F8: D29C0008 00027908
	v_add_i32 v8, v8, s56                                      // 000000003600: D29C0008 00007108
	s_mul_i32 s56, s5, s71                                     // 000000003608: 92384705
	s_add_u32 s16, s56, s16                                    // 00000000360C: 80101038
	s_addc_u32 s17, 0, s17                                     // 000000003610: 82111180
	s_mov_b32 s53, 0x100                                       // 000000003614: BEB500FF 00000100
	s_mov_b32 s54, 0x1000                                      // 00000000361C: BEB600FF 00001000
	s_mul_i32 s75, 2, s57                                      // 000000003624: 924B3982
	s_mov_b32 s55, 0x200                                       // 000000003628: BEB700FF 00000200
	s_mov_b32 s94, s54                                         // 000000003630: BEDE0036
	s_mov_b32 s6, 0x3fb8aa3b                                   // 000000003634: BE8600FF 3FB8AA3B
	s_mov_b32 m0, s48                                          // 00000000363C: BEFC0030
	v_mov_b32_e32 v1, 0xbfcc4231                               // 000000003640: 7E0202FF BFCC4231
	v_mov_b32_e32 v56, 0xffff0000                              // 000000003648: 7E7002FF FFFF0000
	v_mov_b32_e32 v57, 0x7fff0000                              // 000000003650: 7E7202FF 7FFF0000
	v_mov_b32_e32 v58, 0x7fff                                  // 000000003658: 7E7402FF 00007FFF
	s_waitcnt vmcnt(0) expcnt(0) lgkmcnt(0)                    // 000000003660: BF8C0000
	v_and_b32_e32 v9, 0xffffff, v9                             // 000000003664: 261212FF 00FFFFFF
	v_lshlrev_b32_e32 v9, 2, v9                                // 00000000366C: 24121282
	v_and_b32_e32 v10, 0xffffff, v10                           // 000000003670: 261414FF 00FFFFFF
	v_lshlrev_b32_e32 v10, 2, v10                              // 000000003678: 24141482
	v_and_b32_e32 v11, 0xffffff, v11                           // 00000000367C: 261616FF 00FFFFFF
	v_lshlrev_b32_e32 v11, 2, v11                              // 000000003684: 24161682
	v_and_b32_e32 v12, 0xffffff, v12                           // 000000003688: 261818FF 00FFFFFF
	v_lshlrev_b32_e32 v12, 2, v12                              // 000000003690: 24181882
	s_lshr_b32 s56, s7, 1                                      // 000000003694: 8F388107
	s_lshl_b32 s3, s62, 2                                      // 000000003698: 8E03823E
	s_mul_i32 s56, s56, s3                                     // 00000000369C: 92380338
	s_add_u32 s28, s28, s56                                    // 0000000036A0: 801C381C
	s_addc_u32 s29, 0, s29                                     // 0000000036A4: 821D1D80
	s_mov_b32 s30, s3                                          // 0000000036A8: BE9E0003
	s_lshl_b32 s3, s3, 1                                       // 0000000036AC: 8E038103
	s_and_b32 s57, s7, 1                                       // 0000000036B0: 86398107
	s_cmp_eq_u32 s57, 1                                        // 0000000036B4: BF068139
	s_cselect_b32 s56, 0, 1                                    // 0000000036B8: 85388180
	v_mul_lo_u32 v60, v9, s56                                  // 0000000036BC: D285003C 00007109
	v_mul_lo_u32 v61, v10, s57                                 // 0000000036C4: D285003D 0000730A
	v_add_u32_e32 v60, v60, v61                                // 0000000036CC: 68787B3C
	v_mov_b32_e32 v9, v60                                      // 0000000036D0: 7E12033C
	v_mul_lo_u32 v60, v11, s56                                 // 0000000036D4: D285003C 0000710B
	v_mul_lo_u32 v61, v12, s57                                 // 0000000036DC: D285003D 0000730C
	v_add_u32_e32 v60, v60, v61                                // 0000000036E4: 68787B3C
	v_mov_b32_e32 v11, v60                                     // 0000000036E8: 7E16033C
	s_mul_i32 s56, s7, 0x100                                   // 0000000036EC: 9238FF07 00000100
	s_sub_u32 s57, 4, s7                                       // 0000000036F4: 80B90784
	s_mul_i32 s57, s57, 0x1020                                 // 0000000036F8: 9239FF39 00001020
	s_add_u32 s72, s56, s57                                    // 000000003700: 80483938
	v_lshlrev_b32_e32 v3, 2, v0                                // 000000003704: 24060082
	buffer_load_dword v37, v17, s[32:35], 0 offen              // 000000003708: E0501000 80082511
	buffer_load_dword v39, v13, s[40:43], 0 offen              // 000000003710: E0501000 800A270D
	buffer_load_dword v40, v14, s[40:43], 0 offen              // 000000003718: E0501000 800A280E
	buffer_load_dword v41, v15, s[40:43], 0 offen              // 000000003720: E0501000 800A290F
	buffer_load_dword v42, v16, s[40:43], 0 offen              // 000000003728: E0501000 800A2A10
	buffer_load_dword v43, s[20:23], 0 offen lds               // 000000003730: E0511000 8005002B
	s_mul_i32 s56, s80, s64                                    // 000000003738: 92384050
	v_lshl_add_u32 v45, v0, 2, s56                             // 00000000373C: D1FD002D 00E10500
	s_add_u32 m0, 0x100, s48                                   // 000000003744: 807C30FF 00000100
	buffer_load_dword v44, s[20:23], 0 offen lds               // 00000000374C: E0511000 8005002C
	s_mul_i32 s56, s81, s64                                    // 000000003754: 92384051
	v_lshl_add_u32 v46, v0, 2, s56                             // 000000003758: D1FD002E 00E10500
	s_add_u32 m0, 0x200, s48                                   // 000000003760: 807C30FF 00000200
	buffer_load_dword v45, s[20:23], 0 offen lds               // 000000003768: E0511000 8005002D
	s_mul_i32 s56, s82, s64                                    // 000000003770: 92384052
	v_lshl_add_u32 v43, v0, 2, s56                             // 000000003774: D1FD002B 00E10500
	s_add_u32 m0, 0x300, s48                                   // 00000000377C: 807C30FF 00000300
	buffer_load_dword v46, s[20:23], 0 offen lds               // 000000003784: E0511000 8005002E
	s_mul_i32 s56, s83, s64                                    // 00000000378C: 92384053
	v_lshl_add_u32 v44, v0, 2, s56                             // 000000003790: D1FD002C 00E10500
	s_add_u32 m0, 0x400, s48                                   // 000000003798: 807C30FF 00000400
	buffer_load_dword v43, s[20:23], 0 offen lds               // 0000000037A0: E0511000 8005002B
	s_mul_i32 s56, s84, s64                                    // 0000000037A8: 92384054
	v_lshl_add_u32 v45, v0, 2, s56                             // 0000000037AC: D1FD002D 00E10500
	s_add_u32 m0, 0x500, s48                                   // 0000000037B4: 807C30FF 00000500
	buffer_load_dword v44, s[20:23], 0 offen lds               // 0000000037BC: E0511000 8005002C
	s_mul_i32 s56, s85, s64                                    // 0000000037C4: 92384055
	v_lshl_add_u32 v46, v0, 2, s56                             // 0000000037C8: D1FD002E 00E10500
	s_add_u32 m0, 0x600, s48                                   // 0000000037D0: 807C30FF 00000600
	buffer_load_dword v45, s[20:23], 0 offen lds               // 0000000037D8: E0511000 8005002D
	s_mul_i32 s56, s86, s64                                    // 0000000037E0: 92384056
	v_lshl_add_u32 v43, v0, 2, s56                             // 0000000037E4: D1FD002B 00E10500
	s_add_u32 m0, 0x700, s48                                   // 0000000037EC: 807C30FF 00000700
	buffer_load_dword v46, s[20:23], 0 offen lds               // 0000000037F4: E0511000 8005002E
	s_mul_i32 s56, s87, s64                                    // 0000000037FC: 92384057
	v_lshl_add_u32 v44, v0, 2, s56                             // 000000003800: D1FD002C 00E10500
	s_add_u32 m0, 0x800, s48                                   // 000000003808: 807C30FF 00000800
	buffer_load_dword v43, s[20:23], 0 offen lds               // 000000003810: E0511000 8005002B
	s_mul_i32 s56, s88, s64                                    // 000000003818: 92384058
	v_lshl_add_u32 v45, v0, 2, s56                             // 00000000381C: D1FD002D 00E10500
	s_add_u32 m0, 0x900, s48                                   // 000000003824: 807C30FF 00000900
	buffer_load_dword v44, s[20:23], 0 offen lds               // 00000000382C: E0511000 8005002C
	s_mul_i32 s56, s89, s64                                    // 000000003834: 92384059
	v_lshl_add_u32 v46, v0, 2, s56                             // 000000003838: D1FD002E 00E10500
	s_add_u32 m0, 0xa00, s48                                   // 000000003840: 807C30FF 00000A00
	buffer_load_dword v45, s[20:23], 0 offen lds               // 000000003848: E0511000 8005002D
	s_mul_i32 s56, s90, s64                                    // 000000003850: 9238405A
	v_lshl_add_u32 v43, v0, 2, s56                             // 000000003854: D1FD002B 00E10500
	s_add_u32 m0, 0xb00, s48                                   // 00000000385C: 807C30FF 00000B00
	buffer_load_dword v46, s[20:23], 0 offen lds               // 000000003864: E0511000 8005002E
	s_mul_i32 s56, s91, s64                                    // 00000000386C: 9238405B
	v_lshl_add_u32 v44, v0, 2, s56                             // 000000003870: D1FD002C 00E10500
	s_add_u32 m0, 0xc00, s48                                   // 000000003878: 807C30FF 00000C00
	buffer_load_dword v43, s[20:23], 0 offen lds               // 000000003880: E0511000 8005002B
	s_mul_i32 s56, s92, s64                                    // 000000003888: 9238405C
	v_lshl_add_u32 v45, v0, 2, s56                             // 00000000388C: D1FD002D 00E10500
	s_add_u32 m0, 0xd00, s48                                   // 000000003894: 807C30FF 00000D00
	buffer_load_dword v44, s[20:23], 0 offen lds               // 00000000389C: E0511000 8005002C
	s_mul_i32 s56, s93, s64                                    // 0000000038A4: 9238405D
	v_lshl_add_u32 v46, v0, 2, s56                             // 0000000038A8: D1FD002E 00E10500
	s_add_u32 m0, 0xe00, s48                                   // 0000000038B0: 807C30FF 00000E00
	buffer_load_dword v45, s[20:23], 0 offen lds               // 0000000038B8: E0511000 8005002D
	s_mul_i32 s56, s78, s64                                    // 0000000038C0: 9238404E
	v_lshl_add_u32 v43, v0, 2, s56                             // 0000000038C4: D1FD002B 00E10500
	s_add_u32 m0, 0xf00, s48                                   // 0000000038CC: 807C30FF 00000F00
	buffer_load_dword v46, s[20:23], 0 offen lds               // 0000000038D4: E0511000 8005002E
	s_mul_i32 s56, s79, s64                                    // 0000000038DC: 9238404F
	v_lshl_add_u32 v44, v0, 2, s56                             // 0000000038E0: D1FD002C 00E10500
	s_add_u32 m0, s48, s72                                     // 0000000038E8: 807C4830
	buffer_load_dword v9, s[28:31], 0 offen lds                // 0000000038EC: E0511000 80070009
	s_add_u32 m0, m0, 0x400                                    // 0000000038F4: 807CFF7C 00000400
	buffer_load_dword v11, s[28:31], 0 offen lds               // 0000000038FC: E0511000 8007000B
	s_add_u32 m0, 0, s49                                       // 000000003904: 807C3180
	s_add_u32 s20, s53, s20                                    // 000000003908: 80141435
	s_addc_u32 s21, 0, s21                                     // 00000000390C: 82151580
	s_add_u32 s28, s3, s28                                     // 000000003910: 801C1C03
	s_addc_u32 s29, 0, s29                                     // 000000003914: 821D1D80
	buffer_load_dwordx4 a[0:3], v47, s[24:27], 0 offen         // 000000003918: E05C1000 8086002F
	buffer_load_dwordx4 a[4:7], v47, s[24:27], 0 offen offset:1024// 000000003920: E05C1400 8086042F
	buffer_load_dwordx4 a[16:19], v48, s[24:27], 0 offen       // 000000003928: E05C1000 80861030
	buffer_load_dwordx4 a[20:23], v48, s[24:27], 0 offen offset:1024// 000000003930: E05C1400 80861430
	buffer_load_dwordx4 a[32:35], v49, s[24:27], 0 offen       // 000000003938: E05C1000 80862031
	buffer_load_dwordx4 a[36:39], v49, s[24:27], 0 offen offset:1024// 000000003940: E05C1400 80862431
	;; [unrolled: 2-line block ×3, first 2 shown]
	buffer_load_dwordx4 a[8:11], v47, s[24:27], 0 offen offset:2048// 000000003958: E05C1800 8086082F
	buffer_load_dwordx4 a[12:15], v47, s[24:27], 0 offen offset:3072// 000000003960: E05C1C00 80860C2F
	buffer_load_dwordx4 a[24:27], v48, s[24:27], 0 offen offset:2048// 000000003968: E05C1800 80861830
	buffer_load_dwordx4 a[28:31], v48, s[24:27], 0 offen offset:3072// 000000003970: E05C1C00 80861C30
	buffer_load_dwordx4 a[40:43], v49, s[24:27], 0 offen offset:2048// 000000003978: E05C1800 80862831
	buffer_load_dwordx4 a[44:47], v49, s[24:27], 0 offen offset:3072// 000000003980: E05C1C00 80862C31
	buffer_load_dwordx4 a[56:59], v50, s[24:27], 0 offen offset:2048// 000000003988: E05C1800 80863832
	buffer_load_dwordx4 a[60:63], v50, s[24:27], 0 offen offset:3072// 000000003990: E05C1C00 80863C32
	s_add_u32 s24, s54, s24                                    // 000000003998: 80181836
	s_addc_u32 s25, 0, s25                                     // 00000000399C: 82191980
	v_mov_b32_e32 v64, 0                                       // 0000000039A0: 7E800280
	v_mov_b32_e32 v128, 0                                      // 0000000039A4: 7F000280
	v_mov_b32_e32 v65, 0                                       // 0000000039A8: 7E820280
	v_mov_b32_e32 v129, 0                                      // 0000000039AC: 7F020280
	v_mov_b32_e32 v66, 0                                       // 0000000039B0: 7E840280
	v_mov_b32_e32 v130, 0                                      // 0000000039B4: 7F040280
	v_mov_b32_e32 v67, 0                                       // 0000000039B8: 7E860280
	v_mov_b32_e32 v131, 0                                      // 0000000039BC: 7F060280
	v_mov_b32_e32 v68, 0                                       // 0000000039C0: 7E880280
	v_mov_b32_e32 v132, 0                                      // 0000000039C4: 7F080280
	v_mov_b32_e32 v69, 0                                       // 0000000039C8: 7E8A0280
	v_mov_b32_e32 v133, 0                                      // 0000000039CC: 7F0A0280
	v_mov_b32_e32 v70, 0                                       // 0000000039D0: 7E8C0280
	v_mov_b32_e32 v134, 0                                      // 0000000039D4: 7F0C0280
	v_mov_b32_e32 v71, 0                                       // 0000000039D8: 7E8E0280
	v_mov_b32_e32 v135, 0                                      // 0000000039DC: 7F0E0280
	v_mov_b32_e32 v72, 0                                       // 0000000039E0: 7E900280
	v_mov_b32_e32 v136, 0                                      // 0000000039E4: 7F100280
	v_mov_b32_e32 v73, 0                                       // 0000000039E8: 7E920280
	v_mov_b32_e32 v137, 0                                      // 0000000039EC: 7F120280
	v_mov_b32_e32 v74, 0                                       // 0000000039F0: 7E940280
	v_mov_b32_e32 v138, 0                                      // 0000000039F4: 7F140280
	v_mov_b32_e32 v75, 0                                       // 0000000039F8: 7E960280
	v_mov_b32_e32 v139, 0                                      // 0000000039FC: 7F160280
	v_mov_b32_e32 v76, 0                                       // 000000003A00: 7E980280
	v_mov_b32_e32 v140, 0                                      // 000000003A04: 7F180280
	v_mov_b32_e32 v77, 0                                       // 000000003A08: 7E9A0280
	v_mov_b32_e32 v141, 0                                      // 000000003A0C: 7F1A0280
	v_mov_b32_e32 v78, 0                                       // 000000003A10: 7E9C0280
	v_mov_b32_e32 v142, 0                                      // 000000003A14: 7F1C0280
	v_mov_b32_e32 v79, 0                                       // 000000003A18: 7E9E0280
	v_mov_b32_e32 v143, 0                                      // 000000003A1C: 7F1E0280
	v_mov_b32_e32 v80, 0                                       // 000000003A20: 7EA00280
	v_mov_b32_e32 v144, 0                                      // 000000003A24: 7F200280
	v_mov_b32_e32 v81, 0                                       // 000000003A28: 7EA20280
	v_mov_b32_e32 v145, 0                                      // 000000003A2C: 7F220280
	v_mov_b32_e32 v82, 0                                       // 000000003A30: 7EA40280
	v_mov_b32_e32 v146, 0                                      // 000000003A34: 7F240280
	v_mov_b32_e32 v83, 0                                       // 000000003A38: 7EA60280
	v_mov_b32_e32 v147, 0                                      // 000000003A3C: 7F260280
	v_mov_b32_e32 v84, 0                                       // 000000003A40: 7EA80280
	v_mov_b32_e32 v148, 0                                      // 000000003A44: 7F280280
	v_mov_b32_e32 v85, 0                                       // 000000003A48: 7EAA0280
	v_mov_b32_e32 v149, 0                                      // 000000003A4C: 7F2A0280
	v_mov_b32_e32 v86, 0                                       // 000000003A50: 7EAC0280
	v_mov_b32_e32 v150, 0                                      // 000000003A54: 7F2C0280
	v_mov_b32_e32 v87, 0                                       // 000000003A58: 7EAE0280
	v_mov_b32_e32 v151, 0                                      // 000000003A5C: 7F2E0280
	v_mov_b32_e32 v88, 0                                       // 000000003A60: 7EB00280
	v_mov_b32_e32 v152, 0                                      // 000000003A64: 7F300280
	v_mov_b32_e32 v89, 0                                       // 000000003A68: 7EB20280
	v_mov_b32_e32 v153, 0                                      // 000000003A6C: 7F320280
	v_mov_b32_e32 v90, 0                                       // 000000003A70: 7EB40280
	v_mov_b32_e32 v154, 0                                      // 000000003A74: 7F340280
	v_mov_b32_e32 v91, 0                                       // 000000003A78: 7EB60280
	v_mov_b32_e32 v155, 0                                      // 000000003A7C: 7F360280
	v_mov_b32_e32 v92, 0                                       // 000000003A80: 7EB80280
	v_mov_b32_e32 v156, 0                                      // 000000003A84: 7F380280
	v_mov_b32_e32 v93, 0                                       // 000000003A88: 7EBA0280
	v_mov_b32_e32 v157, 0                                      // 000000003A8C: 7F3A0280
	v_mov_b32_e32 v94, 0                                       // 000000003A90: 7EBC0280
	v_mov_b32_e32 v158, 0                                      // 000000003A94: 7F3C0280
	v_mov_b32_e32 v95, 0                                       // 000000003A98: 7EBE0280
	v_mov_b32_e32 v159, 0                                      // 000000003A9C: 7F3E0280
	v_mov_b32_e32 v96, 0                                       // 000000003AA0: 7EC00280
	v_mov_b32_e32 v160, 0                                      // 000000003AA4: 7F400280
	v_mov_b32_e32 v97, 0                                       // 000000003AA8: 7EC20280
	v_mov_b32_e32 v161, 0                                      // 000000003AAC: 7F420280
	v_mov_b32_e32 v98, 0                                       // 000000003AB0: 7EC40280
	v_mov_b32_e32 v162, 0                                      // 000000003AB4: 7F440280
	v_mov_b32_e32 v99, 0                                       // 000000003AB8: 7EC60280
	v_mov_b32_e32 v163, 0                                      // 000000003ABC: 7F460280
	v_mov_b32_e32 v100, 0                                      // 000000003AC0: 7EC80280
	v_mov_b32_e32 v164, 0                                      // 000000003AC4: 7F480280
	v_mov_b32_e32 v101, 0                                      // 000000003AC8: 7ECA0280
	v_mov_b32_e32 v165, 0                                      // 000000003ACC: 7F4A0280
	v_mov_b32_e32 v102, 0                                      // 000000003AD0: 7ECC0280
	v_mov_b32_e32 v166, 0                                      // 000000003AD4: 7F4C0280
	v_mov_b32_e32 v103, 0                                      // 000000003AD8: 7ECE0280
	v_mov_b32_e32 v167, 0                                      // 000000003ADC: 7F4E0280
	v_mov_b32_e32 v104, 0                                      // 000000003AE0: 7ED00280
	v_mov_b32_e32 v168, 0                                      // 000000003AE4: 7F500280
	v_mov_b32_e32 v105, 0                                      // 000000003AE8: 7ED20280
	v_mov_b32_e32 v169, 0                                      // 000000003AEC: 7F520280
	v_mov_b32_e32 v106, 0                                      // 000000003AF0: 7ED40280
	v_mov_b32_e32 v170, 0                                      // 000000003AF4: 7F540280
	v_mov_b32_e32 v107, 0                                      // 000000003AF8: 7ED60280
	v_mov_b32_e32 v171, 0                                      // 000000003AFC: 7F560280
	v_mov_b32_e32 v108, 0                                      // 000000003B00: 7ED80280
	v_mov_b32_e32 v172, 0                                      // 000000003B04: 7F580280
	v_mov_b32_e32 v109, 0                                      // 000000003B08: 7EDA0280
	v_mov_b32_e32 v173, 0                                      // 000000003B0C: 7F5A0280
	v_mov_b32_e32 v110, 0                                      // 000000003B10: 7EDC0280
	v_mov_b32_e32 v174, 0                                      // 000000003B14: 7F5C0280
	v_mov_b32_e32 v111, 0                                      // 000000003B18: 7EDE0280
	v_mov_b32_e32 v175, 0                                      // 000000003B1C: 7F5E0280
	v_mov_b32_e32 v112, 0                                      // 000000003B20: 7EE00280
	v_mov_b32_e32 v176, 0                                      // 000000003B24: 7F600280
	v_mov_b32_e32 v113, 0                                      // 000000003B28: 7EE20280
	v_mov_b32_e32 v177, 0                                      // 000000003B2C: 7F620280
	v_mov_b32_e32 v114, 0                                      // 000000003B30: 7EE40280
	v_mov_b32_e32 v178, 0                                      // 000000003B34: 7F640280
	v_mov_b32_e32 v115, 0                                      // 000000003B38: 7EE60280
	v_mov_b32_e32 v179, 0                                      // 000000003B3C: 7F660280
	v_mov_b32_e32 v116, 0                                      // 000000003B40: 7EE80280
	v_mov_b32_e32 v180, 0                                      // 000000003B44: 7F680280
	v_mov_b32_e32 v117, 0                                      // 000000003B48: 7EEA0280
	v_mov_b32_e32 v181, 0                                      // 000000003B4C: 7F6A0280
	v_mov_b32_e32 v118, 0                                      // 000000003B50: 7EEC0280
	v_mov_b32_e32 v182, 0                                      // 000000003B54: 7F6C0280
	v_mov_b32_e32 v119, 0                                      // 000000003B58: 7EEE0280
	v_mov_b32_e32 v183, 0                                      // 000000003B5C: 7F6E0280
	v_mov_b32_e32 v120, 0                                      // 000000003B60: 7EF00280
	v_mov_b32_e32 v184, 0                                      // 000000003B64: 7F700280
	v_mov_b32_e32 v121, 0                                      // 000000003B68: 7EF20280
	v_mov_b32_e32 v185, 0                                      // 000000003B6C: 7F720280
	v_mov_b32_e32 v122, 0                                      // 000000003B70: 7EF40280
	v_mov_b32_e32 v186, 0                                      // 000000003B74: 7F740280
	v_mov_b32_e32 v123, 0                                      // 000000003B78: 7EF60280
	v_mov_b32_e32 v187, 0                                      // 000000003B7C: 7F760280
	v_mov_b32_e32 v124, 0                                      // 000000003B80: 7EF80280
	v_mov_b32_e32 v188, 0                                      // 000000003B84: 7F780280
	v_mov_b32_e32 v125, 0                                      // 000000003B88: 7EFA0280
	v_mov_b32_e32 v189, 0                                      // 000000003B8C: 7F7A0280
	v_mov_b32_e32 v126, 0                                      // 000000003B90: 7EFC0280
	v_mov_b32_e32 v190, 0                                      // 000000003B94: 7F7C0280
	v_mov_b32_e32 v127, 0                                      // 000000003B98: 7EFE0280
	v_mov_b32_e32 v191, 0                                      // 000000003B9C: 7F7E0280
	v_mov_b32_e32 v128, 0                                      // 000000003BA0: 7F000280
	v_mov_b32_e32 v192, 0                                      // 000000003BA4: 7F800280
	v_mov_b32_e32 v129, 0                                      // 000000003BA8: 7F020280
	v_mov_b32_e32 v193, 0                                      // 000000003BAC: 7F820280
	v_mov_b32_e32 v130, 0                                      // 000000003BB0: 7F040280
	v_mov_b32_e32 v194, 0                                      // 000000003BB4: 7F840280
	v_mov_b32_e32 v131, 0                                      // 000000003BB8: 7F060280
	v_mov_b32_e32 v195, 0                                      // 000000003BBC: 7F860280
	v_mov_b32_e32 v132, 0                                      // 000000003BC0: 7F080280
	v_mov_b32_e32 v196, 0                                      // 000000003BC4: 7F880280
	v_mov_b32_e32 v133, 0                                      // 000000003BC8: 7F0A0280
	v_mov_b32_e32 v197, 0                                      // 000000003BCC: 7F8A0280
	v_mov_b32_e32 v134, 0                                      // 000000003BD0: 7F0C0280
	v_mov_b32_e32 v198, 0                                      // 000000003BD4: 7F8C0280
	v_mov_b32_e32 v135, 0                                      // 000000003BD8: 7F0E0280
	v_mov_b32_e32 v199, 0                                      // 000000003BDC: 7F8E0280
	v_mov_b32_e32 v136, 0                                      // 000000003BE0: 7F100280
	v_mov_b32_e32 v200, 0                                      // 000000003BE4: 7F900280
	v_mov_b32_e32 v137, 0                                      // 000000003BE8: 7F120280
	v_mov_b32_e32 v201, 0                                      // 000000003BEC: 7F920280
	v_mov_b32_e32 v138, 0                                      // 000000003BF0: 7F140280
	v_mov_b32_e32 v202, 0                                      // 000000003BF4: 7F940280
	v_mov_b32_e32 v139, 0                                      // 000000003BF8: 7F160280
	v_mov_b32_e32 v203, 0                                      // 000000003BFC: 7F960280
	v_mov_b32_e32 v140, 0                                      // 000000003C00: 7F180280
	v_mov_b32_e32 v204, 0                                      // 000000003C04: 7F980280
	v_mov_b32_e32 v141, 0                                      // 000000003C08: 7F1A0280
	v_mov_b32_e32 v205, 0                                      // 000000003C0C: 7F9A0280
	v_mov_b32_e32 v142, 0                                      // 000000003C10: 7F1C0280
	v_mov_b32_e32 v206, 0                                      // 000000003C14: 7F9C0280
	v_mov_b32_e32 v143, 0                                      // 000000003C18: 7F1E0280
	v_mov_b32_e32 v207, 0                                      // 000000003C1C: 7F9E0280
	v_mov_b32_e32 v144, 0                                      // 000000003C20: 7F200280
	v_mov_b32_e32 v208, 0                                      // 000000003C24: 7FA00280
	v_mov_b32_e32 v145, 0                                      // 000000003C28: 7F220280
	v_mov_b32_e32 v209, 0                                      // 000000003C2C: 7FA20280
	v_mov_b32_e32 v146, 0                                      // 000000003C30: 7F240280
	v_mov_b32_e32 v210, 0                                      // 000000003C34: 7FA40280
	v_mov_b32_e32 v147, 0                                      // 000000003C38: 7F260280
	v_mov_b32_e32 v211, 0                                      // 000000003C3C: 7FA60280
	v_mov_b32_e32 v148, 0                                      // 000000003C40: 7F280280
	v_mov_b32_e32 v212, 0                                      // 000000003C44: 7FA80280
	v_mov_b32_e32 v149, 0                                      // 000000003C48: 7F2A0280
	v_mov_b32_e32 v213, 0                                      // 000000003C4C: 7FAA0280
	v_mov_b32_e32 v150, 0                                      // 000000003C50: 7F2C0280
	v_mov_b32_e32 v214, 0                                      // 000000003C54: 7FAC0280
	v_mov_b32_e32 v151, 0                                      // 000000003C58: 7F2E0280
	v_mov_b32_e32 v215, 0                                      // 000000003C5C: 7FAE0280
	v_mov_b32_e32 v152, 0                                      // 000000003C60: 7F300280
	v_mov_b32_e32 v216, 0                                      // 000000003C64: 7FB00280
	v_mov_b32_e32 v153, 0                                      // 000000003C68: 7F320280
	v_mov_b32_e32 v217, 0                                      // 000000003C6C: 7FB20280
	v_mov_b32_e32 v154, 0                                      // 000000003C70: 7F340280
	v_mov_b32_e32 v218, 0                                      // 000000003C74: 7FB40280
	v_mov_b32_e32 v155, 0                                      // 000000003C78: 7F360280
	v_mov_b32_e32 v219, 0                                      // 000000003C7C: 7FB60280
	v_mov_b32_e32 v156, 0                                      // 000000003C80: 7F380280
	v_mov_b32_e32 v220, 0                                      // 000000003C84: 7FB80280
	v_mov_b32_e32 v157, 0                                      // 000000003C88: 7F3A0280
	v_mov_b32_e32 v221, 0                                      // 000000003C8C: 7FBA0280
	v_mov_b32_e32 v158, 0                                      // 000000003C90: 7F3C0280
	v_mov_b32_e32 v222, 0                                      // 000000003C94: 7FBC0280
	v_mov_b32_e32 v159, 0                                      // 000000003C98: 7F3E0280
	v_mov_b32_e32 v223, 0                                      // 000000003C9C: 7FBE0280
	v_mov_b32_e32 v160, 0                                      // 000000003CA0: 7F400280
	v_mov_b32_e32 v224, 0                                      // 000000003CA4: 7FC00280
	v_mov_b32_e32 v161, 0                                      // 000000003CA8: 7F420280
	v_mov_b32_e32 v225, 0                                      // 000000003CAC: 7FC20280
	v_mov_b32_e32 v162, 0                                      // 000000003CB0: 7F440280
	v_mov_b32_e32 v226, 0                                      // 000000003CB4: 7FC40280
	v_mov_b32_e32 v163, 0                                      // 000000003CB8: 7F460280
	v_mov_b32_e32 v227, 0                                      // 000000003CBC: 7FC60280
	v_mov_b32_e32 v164, 0                                      // 000000003CC0: 7F480280
	v_mov_b32_e32 v228, 0                                      // 000000003CC4: 7FC80280
	v_mov_b32_e32 v165, 0                                      // 000000003CC8: 7F4A0280
	v_mov_b32_e32 v229, 0                                      // 000000003CCC: 7FCA0280
	v_mov_b32_e32 v166, 0                                      // 000000003CD0: 7F4C0280
	v_mov_b32_e32 v230, 0                                      // 000000003CD4: 7FCC0280
	v_mov_b32_e32 v167, 0                                      // 000000003CD8: 7F4E0280
	v_mov_b32_e32 v231, 0                                      // 000000003CDC: 7FCE0280
	v_mov_b32_e32 v168, 0                                      // 000000003CE0: 7F500280
	v_mov_b32_e32 v232, 0                                      // 000000003CE4: 7FD00280
	v_mov_b32_e32 v169, 0                                      // 000000003CE8: 7F520280
	v_mov_b32_e32 v233, 0                                      // 000000003CEC: 7FD20280
	v_mov_b32_e32 v170, 0                                      // 000000003CF0: 7F540280
	v_mov_b32_e32 v234, 0                                      // 000000003CF4: 7FD40280
	v_mov_b32_e32 v171, 0                                      // 000000003CF8: 7F560280
	v_mov_b32_e32 v235, 0                                      // 000000003CFC: 7FD60280
	v_mov_b32_e32 v172, 0                                      // 000000003D00: 7F580280
	v_mov_b32_e32 v236, 0                                      // 000000003D04: 7FD80280
	v_mov_b32_e32 v173, 0                                      // 000000003D08: 7F5A0280
	v_mov_b32_e32 v237, 0                                      // 000000003D0C: 7FDA0280
	v_mov_b32_e32 v174, 0                                      // 000000003D10: 7F5C0280
	v_mov_b32_e32 v238, 0                                      // 000000003D14: 7FDC0280
	v_mov_b32_e32 v175, 0                                      // 000000003D18: 7F5E0280
	v_mov_b32_e32 v239, 0                                      // 000000003D1C: 7FDE0280
	v_mov_b32_e32 v176, 0                                      // 000000003D20: 7F600280
	v_mov_b32_e32 v240, 0                                      // 000000003D24: 7FE00280
	v_mov_b32_e32 v177, 0                                      // 000000003D28: 7F620280
	v_mov_b32_e32 v241, 0                                      // 000000003D2C: 7FE20280
	v_mov_b32_e32 v178, 0                                      // 000000003D30: 7F640280
	v_mov_b32_e32 v242, 0                                      // 000000003D34: 7FE40280
	v_mov_b32_e32 v179, 0                                      // 000000003D38: 7F660280
	v_mov_b32_e32 v243, 0                                      // 000000003D3C: 7FE60280
	v_mov_b32_e32 v180, 0                                      // 000000003D40: 7F680280
	v_mov_b32_e32 v244, 0                                      // 000000003D44: 7FE80280
	v_mov_b32_e32 v181, 0                                      // 000000003D48: 7F6A0280
	v_mov_b32_e32 v245, 0                                      // 000000003D4C: 7FEA0280
	v_mov_b32_e32 v182, 0                                      // 000000003D50: 7F6C0280
	v_mov_b32_e32 v246, 0                                      // 000000003D54: 7FEC0280
	v_mov_b32_e32 v183, 0                                      // 000000003D58: 7F6E0280
	v_mov_b32_e32 v247, 0                                      // 000000003D5C: 7FEE0280
	v_mov_b32_e32 v184, 0                                      // 000000003D60: 7F700280
	v_mov_b32_e32 v248, 0                                      // 000000003D64: 7FF00280
	v_mov_b32_e32 v185, 0                                      // 000000003D68: 7F720280
	v_mov_b32_e32 v249, 0                                      // 000000003D6C: 7FF20280
	v_mov_b32_e32 v186, 0                                      // 000000003D70: 7F740280
	v_mov_b32_e32 v250, 0                                      // 000000003D74: 7FF40280
	v_mov_b32_e32 v187, 0                                      // 000000003D78: 7F760280
	v_mov_b32_e32 v251, 0                                      // 000000003D7C: 7FF60280
	v_mov_b32_e32 v188, 0                                      // 000000003D80: 7F780280
	v_mov_b32_e32 v252, 0                                      // 000000003D84: 7FF80280
	v_mov_b32_e32 v189, 0                                      // 000000003D88: 7F7A0280
	v_mov_b32_e32 v253, 0                                      // 000000003D8C: 7FFA0280
	v_mov_b32_e32 v190, 0                                      // 000000003D90: 7F7C0280
	v_mov_b32_e32 v254, 0                                      // 000000003D94: 7FFC0280
	v_mov_b32_e32 v191, 0                                      // 000000003D98: 7F7E0280
	v_mov_b32_e32 v255, 0                                      // 000000003D9C: 7FFE0280
	v_lshrrev_b32_e32 v60, 4, v0                               // 000000003DA0: 20780084
	v_mul_i32_i24_e32 v4, 34, v60                              // 000000003DA4: 0C0878A2
	v_and_b32_e32 v60, 15, v0                                  // 000000003DA8: 2678008F
	v_mul_i32_i24_e32 v61, 2, v60                              // 000000003DAC: 0C7A7882
	v_add_u32_e32 v4, v61, v4                                  // 000000003DB0: 6808093D
	s_mul_i32 s56, s7, 0x88                                    // 000000003DB4: 9238FF07 00000088
	v_add_u32_e32 v4, s56, v4                                  // 000000003DBC: 68080838
	v_mov_b32_e32 v5, v4                                       // 000000003DC0: 7E0A0304
	v_mov_b32_e32 v60, 0                                       // 000000003DC4: 7E780280
	v_mov_b32_e32 v61, 0x1100                                  // 000000003DC8: 7E7A02FF 00001100
	v_add_u32_e32 v4, v4, v60                                  // 000000003DD0: 68087904
	v_add_u32_e32 v5, v5, v61                                  // 000000003DD4: 680A7B05
	v_lshlrev_b32_e32 v4, 2, v4                                // 000000003DD8: 24080882
	v_lshlrev_b32_e32 v5, 2, v5                                // 000000003DDC: 240A0A82
	v_lshrrev_b32_e32 v60, 1, v0                               // 000000003DE0: 20780081
	v_mul_i32_i24_e32 v6, 34, v60                              // 000000003DE4: 0C0C78A2
	v_and_b32_e32 v61, 1, v0                                   // 000000003DE8: 267A0081
	v_add_u32_e32 v6, v61, v6                                  // 000000003DEC: 680C0D3D
	s_mul_i32 s56, s7, 2                                       // 000000003DF0: 92388207
	v_add_u32_e32 v6, s56, v6                                  // 000000003DF4: 680C0C38
	v_mov_b32_e32 v7, v6                                       // 000000003DF8: 7E0E0306
	v_mov_b32_e32 v60, 0                                       // 000000003DFC: 7E780280
	v_mov_b32_e32 v61, 0x1100                                  // 000000003E00: 7E7A02FF 00001100
	v_add_u32_e32 v6, v6, v60                                  // 000000003E08: 680C7906
	v_add_u32_e32 v7, v7, v61                                  // 000000003E0C: 680E7B07
	v_lshlrev_b32_e32 v6, 2, v6                                // 000000003E10: 240C0C82
	v_lshlrev_b32_e32 v7, 2, v7                                // 000000003E14: 240E0E82
	s_waitcnt vmcnt(16)                                        // 000000003E18: BF8C4F70
	s_barrier                                                  // 000000003E1C: BF8A0000
	ds_read_b128 a[128:131], v2                                // 000000003E20: DBFE0000 80000002
	ds_read_b128 a[132:135], v2 offset:64                      // 000000003E28: DBFE0040 84000002
	ds_read_b128 a[136:139], v2 offset:128                     // 000000003E30: DBFE0080 88000002
	ds_read_b128 a[140:143], v2 offset:192                     // 000000003E38: DBFE00C0 8C000002
	ds_read_b128 a[144:147], v2 offset:1024                    // 000000003E40: DBFE0400 90000002
	ds_read_b128 a[148:151], v2 offset:1088                    // 000000003E48: DBFE0440 94000002
	ds_read_b128 a[152:155], v2 offset:1152                    // 000000003E50: DBFE0480 98000002
	ds_read_b128 a[156:159], v2 offset:1216                    // 000000003E58: DBFE04C0 9C000002
	ds_read_b128 a[160:163], v2 offset:2048                    // 000000003E60: DBFE0800 A0000002
	ds_read_b128 a[164:167], v2 offset:2112                    // 000000003E68: DBFE0840 A4000002
	ds_read_b128 a[168:171], v2 offset:2176                    // 000000003E70: DBFE0880 A8000002
	ds_read_b128 a[172:175], v2 offset:2240                    // 000000003E78: DBFE08C0 AC000002
	ds_read_b128 a[176:179], v2 offset:3072                    // 000000003E80: DBFE0C00 B0000002
	ds_read_b128 a[180:183], v2 offset:3136                    // 000000003E88: DBFE0C40 B4000002
	ds_read_b128 a[184:187], v2 offset:3200                    // 000000003E90: DBFE0C80 B8000002
	ds_read_b128 a[188:191], v2 offset:3264                    // 000000003E98: DBFE0CC0 BC000002
	ds_read_b32 v21, v3 offset:16512                           // 000000003EA0: D86C4080 15000003
	ds_read_b32 v22, v3 offset:16768                           // 000000003EA8: D86C4180 16000003
	ds_read_b32 v23, v3 offset:17536                           // 000000003EB0: D86C4480 17000003
	ds_read_b32 v24, v3 offset:17792                           // 000000003EB8: D86C4580 18000003
	ds_read_b32 v25, v3 offset:17024                           // 000000003EC0: D86C4280 19000003
	ds_read_b32 v26, v3 offset:17280                           // 000000003EC8: D86C4380 1A000003
	ds_read_b32 v27, v3 offset:18048                           // 000000003ED0: D86C4680 1B000003
	ds_read_b32 v28, v3 offset:18304                           // 000000003ED8: D86C4780 1C000003
	s_cmp_lt_i32 s7, 2                                         // 000000003EE0: BF048207
	s_cbranch_scc0 label_1DAA                                  // 000000003EE4: BF841970

0000000000003ee8 <label_043A>:
	s_waitcnt vmcnt(8) lgkmcnt(0)                              // 000000003EE8: BF8C0078
	s_barrier                                                  // 000000003EEC: BF8A0000
	v_mfma_f32_16x16x32_fp8_fp8 v[192:195], a[0:1], a[128:129], 0// 000000003EF0: D3F300C0 1A030100
	v_mfma_f32_16x16x32_fp8_fp8 v[192:195], a[2:3], a[130:131], v[192:195]// 000000003EF8: D3F300C0 1F030502
	buffer_load_dwordx4 a[64:67], v47, s[96:99], 0 offen       // 000000003F00: E05C1000 8098402F
	v_mfma_f32_16x16x32_fp8_fp8 v[192:195], a[4:5], a[132:133], v[192:195]// 000000003F08: D3F300C0 1F030904
	v_mfma_f32_16x16x32_fp8_fp8 v[192:195], a[6:7], a[134:135], v[192:195]// 000000003F10: D3F300C0 1F030D06
	buffer_load_dword v43, s[20:23], 0 offen lds               // 000000003F18: E0511000 8005002B
	s_mul_i32 s56, s80, s64                                    // 000000003F20: 92384050
	v_lshl_add_u32 v45, v0, 2, s56                             // 000000003F24: D1FD002D 00E10500
	s_add_u32 m0, 0x100, s49                                   // 000000003F2C: 807C31FF 00000100
	v_mfma_f32_16x16x32_fp8_fp8 v[196:199], a[0:1], a[144:145], 0// 000000003F34: D3F300C4 1A032100
	v_mfma_f32_16x16x32_fp8_fp8 v[196:199], a[2:3], a[146:147], v[196:199]// 000000003F3C: D3F300C4 1F132502
	v_mfma_f32_16x16x32_fp8_fp8 v[196:199], a[4:5], a[148:149], v[196:199]// 000000003F44: D3F300C4 1F132904
	v_mfma_f32_16x16x32_fp8_fp8 v[196:199], a[6:7], a[150:151], v[196:199]// 000000003F4C: D3F300C4 1F132D06
	buffer_load_dword v44, s[20:23], 0 offen lds               // 000000003F54: E0511000 8005002C
	s_mul_i32 s56, s81, s64                                    // 000000003F5C: 92384051
	v_lshl_add_u32 v46, v0, 2, s56                             // 000000003F60: D1FD002E 00E10500
	s_add_u32 m0, 0x200, s49                                   // 000000003F68: 807C31FF 00000200
	v_mfma_f32_16x16x32_fp8_fp8 v[200:203], a[0:1], a[160:161], 0// 000000003F70: D3F300C8 1A034100
	v_mfma_f32_16x16x32_fp8_fp8 v[200:203], a[2:3], a[162:163], v[200:203]// 000000003F78: D3F300C8 1F234502
	buffer_load_dwordx4 a[68:71], v47, s[96:99], 0 offen offset:1024// 000000003F80: E05C1400 8098442F
	v_mfma_f32_16x16x32_fp8_fp8 v[200:203], a[4:5], a[164:165], v[200:203]// 000000003F88: D3F300C8 1F234904
	v_mfma_f32_16x16x32_fp8_fp8 v[200:203], a[6:7], a[166:167], v[200:203]// 000000003F90: D3F300C8 1F234D06
	buffer_load_dword v45, s[20:23], 0 offen lds               // 000000003F98: E0511000 8005002D
	s_mul_i32 s56, s82, s64                                    // 000000003FA0: 92384052
	v_lshl_add_u32 v43, v0, 2, s56                             // 000000003FA4: D1FD002B 00E10500
	s_add_u32 m0, 0x300, s49                                   // 000000003FAC: 807C31FF 00000300
	v_mfma_f32_16x16x32_fp8_fp8 v[204:207], a[0:1], a[176:177], 0// 000000003FB4: D3F300CC 1A036100
	v_mfma_f32_16x16x32_fp8_fp8 v[204:207], a[2:3], a[178:179], v[204:207]// 000000003FBC: D3F300CC 1F336502
	v_mfma_f32_16x16x32_fp8_fp8 v[204:207], a[4:5], a[180:181], v[204:207]// 000000003FC4: D3F300CC 1F336904
	v_mfma_f32_16x16x32_fp8_fp8 v[204:207], a[6:7], a[182:183], v[204:207]// 000000003FCC: D3F300CC 1F336D06
	buffer_load_dword v46, s[20:23], 0 offen lds               // 000000003FD4: E0511000 8005002E
	s_mul_i32 s56, s83, s64                                    // 000000003FDC: 92384053
	v_lshl_add_u32 v44, v0, 2, s56                             // 000000003FE0: D1FD002C 00E10500
	s_add_u32 m0, 0x400, s49                                   // 000000003FE8: 807C31FF 00000400
	v_mfma_f32_16x16x32_fp8_fp8 v[208:211], a[16:17], a[128:129], 0// 000000003FF0: D3F300D0 1A030110
	v_mfma_f32_16x16x32_fp8_fp8 v[208:211], a[18:19], a[130:131], v[208:211]// 000000003FF8: D3F300D0 1F430512
	buffer_load_dwordx4 a[80:83], v48, s[96:99], 0 offen       // 000000004000: E05C1000 80985030
	v_mfma_f32_16x16x32_fp8_fp8 v[208:211], a[20:21], a[132:133], v[208:211]// 000000004008: D3F300D0 1F430914
	v_mfma_f32_16x16x32_fp8_fp8 v[208:211], a[22:23], a[134:135], v[208:211]// 000000004010: D3F300D0 1F430D16
	buffer_load_dword v43, s[20:23], 0 offen lds               // 000000004018: E0511000 8005002B
	s_mul_i32 s56, s84, s64                                    // 000000004020: 92384054
	v_lshl_add_u32 v45, v0, 2, s56                             // 000000004024: D1FD002D 00E10500
	s_add_u32 m0, 0x500, s49                                   // 00000000402C: 807C31FF 00000500
	v_mfma_f32_16x16x32_fp8_fp8 v[212:215], a[16:17], a[144:145], 0// 000000004034: D3F300D4 1A032110
	v_mfma_f32_16x16x32_fp8_fp8 v[212:215], a[18:19], a[146:147], v[212:215]// 00000000403C: D3F300D4 1F532512
	v_mfma_f32_16x16x32_fp8_fp8 v[212:215], a[20:21], a[148:149], v[212:215]// 000000004044: D3F300D4 1F532914
	v_mfma_f32_16x16x32_fp8_fp8 v[212:215], a[22:23], a[150:151], v[212:215]// 00000000404C: D3F300D4 1F532D16
	buffer_load_dword v44, s[20:23], 0 offen lds               // 000000004054: E0511000 8005002C
	s_mul_i32 s56, s85, s64                                    // 00000000405C: 92384055
	v_lshl_add_u32 v46, v0, 2, s56                             // 000000004060: D1FD002E 00E10500
	s_add_u32 m0, 0x600, s49                                   // 000000004068: 807C31FF 00000600
	v_mfma_f32_16x16x32_fp8_fp8 v[216:219], a[16:17], a[160:161], 0// 000000004070: D3F300D8 1A034110
	v_mfma_f32_16x16x32_fp8_fp8 v[216:219], a[18:19], a[162:163], v[216:219]// 000000004078: D3F300D8 1F634512
	buffer_load_dwordx4 a[84:87], v48, s[96:99], 0 offen offset:1024// 000000004080: E05C1400 80985430
	v_mfma_f32_16x16x32_fp8_fp8 v[216:219], a[20:21], a[164:165], v[216:219]// 000000004088: D3F300D8 1F634914
	v_mfma_f32_16x16x32_fp8_fp8 v[216:219], a[22:23], a[166:167], v[216:219]// 000000004090: D3F300D8 1F634D16
	buffer_load_dword v45, s[20:23], 0 offen lds               // 000000004098: E0511000 8005002D
	s_mul_i32 s56, s86, s64                                    // 0000000040A0: 92384056
	v_lshl_add_u32 v43, v0, 2, s56                             // 0000000040A4: D1FD002B 00E10500
	s_add_u32 m0, 0x700, s49                                   // 0000000040AC: 807C31FF 00000700
	v_mfma_f32_16x16x32_fp8_fp8 v[220:223], a[16:17], a[176:177], 0// 0000000040B4: D3F300DC 1A036110
	v_mfma_f32_16x16x32_fp8_fp8 v[220:223], a[18:19], a[178:179], v[220:223]// 0000000040BC: D3F300DC 1F736512
	v_mfma_f32_16x16x32_fp8_fp8 v[220:223], a[20:21], a[180:181], v[220:223]// 0000000040C4: D3F300DC 1F736914
	v_mfma_f32_16x16x32_fp8_fp8 v[220:223], a[22:23], a[182:183], v[220:223]// 0000000040CC: D3F300DC 1F736D16
	buffer_load_dword v46, s[20:23], 0 offen lds               // 0000000040D4: E0511000 8005002E
	s_mul_i32 s56, s87, s64                                    // 0000000040DC: 92384057
	v_lshl_add_u32 v44, v0, 2, s56                             // 0000000040E0: D1FD002C 00E10500
	s_add_u32 m0, 0x800, s49                                   // 0000000040E8: 807C31FF 00000800
	s_waitcnt vmcnt(31)                                        // 0000000040F0: BF8C4F7F
	v_mfma_f32_16x16x32_fp8_fp8 v[224:227], a[32:33], a[128:129], 0// 0000000040F4: D3F300E0 1A030120
	v_mfma_f32_16x16x32_fp8_fp8 v[224:227], a[34:35], a[130:131], v[224:227]// 0000000040FC: D3F300E0 1F830522
	buffer_load_dwordx4 a[96:99], v49, s[96:99], 0 offen       // 000000004104: E05C1000 80986031
	v_mfma_f32_16x16x32_fp8_fp8 v[224:227], a[36:37], a[132:133], v[224:227]// 00000000410C: D3F300E0 1F830924
	v_mfma_f32_16x16x32_fp8_fp8 v[224:227], a[38:39], a[134:135], v[224:227]// 000000004114: D3F300E0 1F830D26
	buffer_load_dword v43, s[20:23], 0 offen lds               // 00000000411C: E0511000 8005002B
	s_mul_i32 s56, s88, s64                                    // 000000004124: 92384058
	v_lshl_add_u32 v45, v0, 2, s56                             // 000000004128: D1FD002D 00E10500
	s_add_u32 m0, 0x900, s49                                   // 000000004130: 807C31FF 00000900
	v_mfma_f32_16x16x32_fp8_fp8 v[228:231], a[32:33], a[144:145], 0// 000000004138: D3F300E4 1A032120
	v_mfma_f32_16x16x32_fp8_fp8 v[228:231], a[34:35], a[146:147], v[228:231]// 000000004140: D3F300E4 1F932522
	v_mfma_f32_16x16x32_fp8_fp8 v[228:231], a[36:37], a[148:149], v[228:231]// 000000004148: D3F300E4 1F932924
	v_mfma_f32_16x16x32_fp8_fp8 v[228:231], a[38:39], a[150:151], v[228:231]// 000000004150: D3F300E4 1F932D26
	buffer_load_dword v44, s[20:23], 0 offen lds               // 000000004158: E0511000 8005002C
	s_mul_i32 s56, s89, s64                                    // 000000004160: 92384059
	v_lshl_add_u32 v46, v0, 2, s56                             // 000000004164: D1FD002E 00E10500
	s_add_u32 m0, 0xa00, s49                                   // 00000000416C: 807C31FF 00000A00
	v_mfma_f32_16x16x32_fp8_fp8 v[232:235], a[32:33], a[160:161], 0// 000000004174: D3F300E8 1A034120
	v_mfma_f32_16x16x32_fp8_fp8 v[232:235], a[34:35], a[162:163], v[232:235]// 00000000417C: D3F300E8 1FA34522
	buffer_load_dwordx4 a[100:103], v49, s[96:99], 0 offen offset:1024// 000000004184: E05C1400 80986431
	v_mfma_f32_16x16x32_fp8_fp8 v[232:235], a[36:37], a[164:165], v[232:235]// 00000000418C: D3F300E8 1FA34924
	v_mfma_f32_16x16x32_fp8_fp8 v[232:235], a[38:39], a[166:167], v[232:235]// 000000004194: D3F300E8 1FA34D26
	buffer_load_dword v45, s[20:23], 0 offen lds               // 00000000419C: E0511000 8005002D
	s_mul_i32 s56, s90, s64                                    // 0000000041A4: 9238405A
	v_lshl_add_u32 v43, v0, 2, s56                             // 0000000041A8: D1FD002B 00E10500
	s_add_u32 m0, 0xb00, s49                                   // 0000000041B0: 807C31FF 00000B00
	v_mfma_f32_16x16x32_fp8_fp8 v[236:239], a[32:33], a[176:177], 0// 0000000041B8: D3F300EC 1A036120
	v_mfma_f32_16x16x32_fp8_fp8 v[236:239], a[34:35], a[178:179], v[236:239]// 0000000041C0: D3F300EC 1FB36522
	v_mfma_f32_16x16x32_fp8_fp8 v[236:239], a[36:37], a[180:181], v[236:239]// 0000000041C8: D3F300EC 1FB36924
	v_mfma_f32_16x16x32_fp8_fp8 v[236:239], a[38:39], a[182:183], v[236:239]// 0000000041D0: D3F300EC 1FB36D26
	buffer_load_dword v46, s[20:23], 0 offen lds               // 0000000041D8: E0511000 8005002E
	s_mul_i32 s56, s91, s64                                    // 0000000041E0: 9238405B
	v_lshl_add_u32 v44, v0, 2, s56                             // 0000000041E4: D1FD002C 00E10500
	s_add_u32 m0, 0xc00, s49                                   // 0000000041EC: 807C31FF 00000C00
	s_waitcnt vmcnt(31)                                        // 0000000041F4: BF8C4F7F
	v_mfma_f32_16x16x32_fp8_fp8 v[240:243], a[48:49], a[128:129], 0// 0000000041F8: D3F300F0 1A030130
	v_mfma_f32_16x16x32_fp8_fp8 v[240:243], a[50:51], a[130:131], v[240:243]// 000000004200: D3F300F0 1FC30532
	buffer_load_dwordx4 a[112:115], v50, s[96:99], 0 offen     // 000000004208: E05C1000 80987032
	v_mfma_f32_16x16x32_fp8_fp8 v[240:243], a[52:53], a[132:133], v[240:243]// 000000004210: D3F300F0 1FC30934
	v_mfma_f32_16x16x32_fp8_fp8 v[240:243], a[54:55], a[134:135], v[240:243]// 000000004218: D3F300F0 1FC30D36
	buffer_load_dword v43, s[20:23], 0 offen lds               // 000000004220: E0511000 8005002B
	s_mul_i32 s56, s92, s64                                    // 000000004228: 9238405C
	v_lshl_add_u32 v45, v0, 2, s56                             // 00000000422C: D1FD002D 00E10500
	s_add_u32 m0, 0xd00, s49                                   // 000000004234: 807C31FF 00000D00
	v_mfma_f32_16x16x32_fp8_fp8 v[244:247], a[48:49], a[144:145], 0// 00000000423C: D3F300F4 1A032130
	v_mfma_f32_16x16x32_fp8_fp8 v[244:247], a[50:51], a[146:147], v[244:247]// 000000004244: D3F300F4 1FD32532
	v_mfma_f32_16x16x32_fp8_fp8 v[244:247], a[52:53], a[148:149], v[244:247]// 00000000424C: D3F300F4 1FD32934
	v_mfma_f32_16x16x32_fp8_fp8 v[244:247], a[54:55], a[150:151], v[244:247]// 000000004254: D3F300F4 1FD32D36
	buffer_load_dword v44, s[20:23], 0 offen lds               // 00000000425C: E0511000 8005002C
	s_mul_i32 s56, s93, s64                                    // 000000004264: 9238405D
	v_lshl_add_u32 v46, v0, 2, s56                             // 000000004268: D1FD002E 00E10500
	s_add_u32 m0, 0xe00, s49                                   // 000000004270: 807C31FF 00000E00
	v_mfma_f32_16x16x32_fp8_fp8 v[248:251], a[48:49], a[160:161], 0// 000000004278: D3F300F8 1A034130
	v_mfma_f32_16x16x32_fp8_fp8 v[248:251], a[50:51], a[162:163], v[248:251]// 000000004280: D3F300F8 1FE34532
	buffer_load_dwordx4 a[116:119], v50, s[96:99], 0 offen offset:1024// 000000004288: E05C1400 80987432
	v_mfma_f32_16x16x32_fp8_fp8 v[248:251], a[52:53], a[164:165], v[248:251]// 000000004290: D3F300F8 1FE34934
	v_mfma_f32_16x16x32_fp8_fp8 v[248:251], a[54:55], a[166:167], v[248:251]// 000000004298: D3F300F8 1FE34D36
	buffer_load_dword v45, s[20:23], 0 offen lds               // 0000000042A0: E0511000 8005002D
	s_mul_i32 s56, s78, s64                                    // 0000000042A8: 9238404E
	v_lshl_add_u32 v43, v0, 2, s56                             // 0000000042AC: D1FD002B 00E10500
	s_add_u32 m0, 0xf00, s49                                   // 0000000042B4: 807C31FF 00000F00
	v_mfma_f32_16x16x32_fp8_fp8 v[252:255], a[48:49], a[176:177], 0// 0000000042BC: D3F300FC 1A036130
	v_mfma_f32_16x16x32_fp8_fp8 v[252:255], a[50:51], a[178:179], v[252:255]// 0000000042C4: D3F300FC 1FF36532
	v_mfma_f32_16x16x32_fp8_fp8 v[252:255], a[52:53], a[180:181], v[252:255]// 0000000042CC: D3F300FC 1FF36934
	v_mfma_f32_16x16x32_fp8_fp8 v[252:255], a[54:55], a[182:183], v[252:255]// 0000000042D4: D3F300FC 1FF36D36
	buffer_load_dword v46, s[20:23], 0 offen lds               // 0000000042DC: E0511000 8005002E
	s_mul_i32 s56, s79, s64                                    // 0000000042E4: 9238404F
	v_lshl_add_u32 v44, v0, 2, s56                             // 0000000042E8: D1FD002C 00E10500
	s_add_u32 m0, s49, s72                                     // 0000000042F0: 807C4831
	buffer_load_dword v9, s[28:31], 0 offen lds                // 0000000042F4: E0511000 80070009
	s_add_u32 m0, m0, 0x400                                    // 0000000042FC: 807CFF7C 00000400
	buffer_load_dword v11, s[28:31], 0 offen lds               // 000000004304: E0511000 8007000B
	s_add_u32 m0, 0, s48                                       // 00000000430C: 807C3080
	buffer_load_dword v38, v19, s[32:35], 0 offen              // 000000004310: E0501000 80082613
	v_mul_f32_dpp v60, v37, v21 row_newbcast:0 row_mask:0xf bank_mask:0xf// 000000004318: 0A782AFA FF015025
	v_mov_b32_e32 v61, v60                                     // 000000004320: 7E7A033C
	v_pk_fma_f32 v[64:65], v[192:193], v[60:61], v[64:65]      // 000000004324: D3B04040 1D0279C0
	v_pk_fma_f32 v[66:67], v[194:195], v[60:61], v[66:67]      // 00000000432C: D3B04042 1D0A79C2
	v_pk_fma_f32 v[80:81], v[208:209], v[60:61], v[80:81]      // 000000004334: D3B04050 1D4279D0
	v_pk_fma_f32 v[82:83], v[210:211], v[60:61], v[82:83]      // 00000000433C: D3B04052 1D4A79D2
	v_mul_f32_dpp v60, v37, v21 row_newbcast:1 row_mask:0xf bank_mask:0xf// 000000004344: 0A782AFA FF015125
	v_mov_b32_e32 v61, v60                                     // 00000000434C: 7E7A033C
	v_pk_fma_f32 v[96:97], v[224:225], v[60:61], v[96:97]      // 000000004350: D3B04060 1D8279E0
	v_pk_fma_f32 v[98:99], v[226:227], v[60:61], v[98:99]      // 000000004358: D3B04062 1D8A79E2
	v_pk_fma_f32 v[112:113], v[240:241], v[60:61], v[112:113]  // 000000004360: D3B04070 1DC279F0
	v_pk_fma_f32 v[114:115], v[242:243], v[60:61], v[114:115]  // 000000004368: D3B04072 1DCA79F2
	v_mul_f32_dpp v60, v37, v22 row_newbcast:0 row_mask:0xf bank_mask:0xf// 000000004370: 0A782CFA FF015025
	v_mov_b32_e32 v61, v60                                     // 000000004378: 7E7A033C
	v_pk_fma_f32 v[68:69], v[196:197], v[60:61], v[68:69]      // 00000000437C: D3B04044 1D1279C4
	v_pk_fma_f32 v[70:71], v[198:199], v[60:61], v[70:71]      // 000000004384: D3B04046 1D1A79C6
	v_pk_fma_f32 v[84:85], v[212:213], v[60:61], v[84:85]      // 00000000438C: D3B04054 1D5279D4
	v_pk_fma_f32 v[86:87], v[214:215], v[60:61], v[86:87]      // 000000004394: D3B04056 1D5A79D6
	v_mul_f32_dpp v60, v37, v22 row_newbcast:1 row_mask:0xf bank_mask:0xf// 00000000439C: 0A782CFA FF015125
	v_mov_b32_e32 v61, v60                                     // 0000000043A4: 7E7A033C
	v_pk_fma_f32 v[100:101], v[228:229], v[60:61], v[100:101]  // 0000000043A8: D3B04064 1D9279E4
	v_pk_fma_f32 v[102:103], v[230:231], v[60:61], v[102:103]  // 0000000043B0: D3B04066 1D9A79E6
	v_pk_fma_f32 v[116:117], v[244:245], v[60:61], v[116:117]  // 0000000043B8: D3B04074 1DD279F4
	v_pk_fma_f32 v[118:119], v[246:247], v[60:61], v[118:119]  // 0000000043C0: D3B04076 1DDA79F6
	v_mul_f32_dpp v60, v37, v23 row_newbcast:0 row_mask:0xf bank_mask:0xf// 0000000043C8: 0A782EFA FF015025
	v_mov_b32_e32 v61, v60                                     // 0000000043D0: 7E7A033C
	v_pk_fma_f32 v[72:73], v[200:201], v[60:61], v[72:73]      // 0000000043D4: D3B04048 1D2279C8
	v_pk_fma_f32 v[74:75], v[202:203], v[60:61], v[74:75]      // 0000000043DC: D3B0404A 1D2A79CA
	v_pk_fma_f32 v[88:89], v[216:217], v[60:61], v[88:89]      // 0000000043E4: D3B04058 1D6279D8
	v_pk_fma_f32 v[90:91], v[218:219], v[60:61], v[90:91]      // 0000000043EC: D3B0405A 1D6A79DA
	v_mul_f32_dpp v60, v37, v23 row_newbcast:1 row_mask:0xf bank_mask:0xf// 0000000043F4: 0A782EFA FF015125
	v_mov_b32_e32 v61, v60                                     // 0000000043FC: 7E7A033C
	v_pk_fma_f32 v[104:105], v[232:233], v[60:61], v[104:105]  // 000000004400: D3B04068 1DA279E8
	v_pk_fma_f32 v[106:107], v[234:235], v[60:61], v[106:107]  // 000000004408: D3B0406A 1DAA79EA
	v_pk_fma_f32 v[120:121], v[248:249], v[60:61], v[120:121]  // 000000004410: D3B04078 1DE279F8
	v_pk_fma_f32 v[122:123], v[250:251], v[60:61], v[122:123]  // 000000004418: D3B0407A 1DEA79FA
	v_mul_f32_dpp v60, v37, v24 row_newbcast:0 row_mask:0xf bank_mask:0xf// 000000004420: 0A7830FA FF015025
	v_mov_b32_e32 v61, v60                                     // 000000004428: 7E7A033C
	v_pk_fma_f32 v[76:77], v[204:205], v[60:61], v[76:77]      // 00000000442C: D3B0404C 1D3279CC
	v_pk_fma_f32 v[78:79], v[206:207], v[60:61], v[78:79]      // 000000004434: D3B0404E 1D3A79CE
	v_pk_fma_f32 v[92:93], v[220:221], v[60:61], v[92:93]      // 00000000443C: D3B0405C 1D7279DC
	v_pk_fma_f32 v[94:95], v[222:223], v[60:61], v[94:95]      // 000000004444: D3B0405E 1D7A79DE
	v_mul_f32_dpp v60, v37, v24 row_newbcast:1 row_mask:0xf bank_mask:0xf// 00000000444C: 0A7830FA FF015125
	v_mov_b32_e32 v61, v60                                     // 000000004454: 7E7A033C
	v_pk_fma_f32 v[108:109], v[236:237], v[60:61], v[108:109]  // 000000004458: D3B0406C 1DB279EC
	v_pk_fma_f32 v[110:111], v[238:239], v[60:61], v[110:111]  // 000000004460: D3B0406E 1DBA79EE
	v_pk_fma_f32 v[124:125], v[252:253], v[60:61], v[124:125]  // 000000004468: D3B0407C 1DF279FC
	v_pk_fma_f32 v[126:127], v[254:255], v[60:61], v[126:127]  // 000000004470: D3B0407E 1DFA79FE
	s_waitcnt vmcnt(31)                                        // 000000004478: BF8C4F7F
	v_mfma_f32_16x16x32_fp8_fp8 v[192:195], a[8:9], a[136:137], 0// 00000000447C: D3F300C0 1A031108
	v_mfma_f32_16x16x32_fp8_fp8 v[192:195], a[10:11], a[138:139], v[192:195]// 000000004484: D3F300C0 1F03150A
	buffer_load_dwordx4 a[72:75], v47, s[96:99], 0 offen offset:2048// 00000000448C: E05C1800 8098482F
	v_mfma_f32_16x16x32_fp8_fp8 v[192:195], a[12:13], a[140:141], v[192:195]// 000000004494: D3F300C0 1F03190C
	v_mfma_f32_16x16x32_fp8_fp8 v[192:195], a[14:15], a[142:143], v[192:195]// 00000000449C: D3F300C0 1F031D0E
	v_mfma_f32_16x16x32_fp8_fp8 v[196:199], a[8:9], a[152:153], 0// 0000000044A4: D3F300C4 1A033108
	v_mfma_f32_16x16x32_fp8_fp8 v[196:199], a[10:11], a[154:155], v[196:199]// 0000000044AC: D3F300C4 1F13350A
	v_mfma_f32_16x16x32_fp8_fp8 v[196:199], a[12:13], a[156:157], v[196:199]// 0000000044B4: D3F300C4 1F13390C
	v_mfma_f32_16x16x32_fp8_fp8 v[196:199], a[14:15], a[158:159], v[196:199]// 0000000044BC: D3F300C4 1F133D0E
	v_mfma_f32_16x16x32_fp8_fp8 v[200:203], a[8:9], a[168:169], 0// 0000000044C4: D3F300C8 1A035108
	v_mfma_f32_16x16x32_fp8_fp8 v[200:203], a[10:11], a[170:171], v[200:203]// 0000000044CC: D3F300C8 1F23550A
	buffer_load_dwordx4 a[76:79], v47, s[96:99], 0 offen offset:3072// 0000000044D4: E05C1C00 80984C2F
	v_mfma_f32_16x16x32_fp8_fp8 v[200:203], a[12:13], a[172:173], v[200:203]// 0000000044DC: D3F300C8 1F23590C
	v_mfma_f32_16x16x32_fp8_fp8 v[200:203], a[14:15], a[174:175], v[200:203]// 0000000044E4: D3F300C8 1F235D0E
	v_mfma_f32_16x16x32_fp8_fp8 v[204:207], a[8:9], a[184:185], 0// 0000000044EC: D3F300CC 1A037108
	v_mfma_f32_16x16x32_fp8_fp8 v[204:207], a[10:11], a[186:187], v[204:207]// 0000000044F4: D3F300CC 1F33750A
	v_mfma_f32_16x16x32_fp8_fp8 v[204:207], a[12:13], a[188:189], v[204:207]// 0000000044FC: D3F300CC 1F33790C
	v_mfma_f32_16x16x32_fp8_fp8 v[204:207], a[14:15], a[190:191], v[204:207]// 000000004504: D3F300CC 1F337D0E
	s_waitcnt vmcnt(31)                                        // 00000000450C: BF8C4F7F
	v_mfma_f32_16x16x32_fp8_fp8 v[208:211], a[24:25], a[136:137], 0// 000000004510: D3F300D0 1A031118
	v_mfma_f32_16x16x32_fp8_fp8 v[208:211], a[26:27], a[138:139], v[208:211]// 000000004518: D3F300D0 1F43151A
	buffer_load_dwordx4 a[88:91], v48, s[96:99], 0 offen offset:2048// 000000004520: E05C1800 80985830
	v_mfma_f32_16x16x32_fp8_fp8 v[208:211], a[28:29], a[140:141], v[208:211]// 000000004528: D3F300D0 1F43191C
	v_mfma_f32_16x16x32_fp8_fp8 v[208:211], a[30:31], a[142:143], v[208:211]// 000000004530: D3F300D0 1F431D1E
	v_mfma_f32_16x16x32_fp8_fp8 v[212:215], a[24:25], a[152:153], 0// 000000004538: D3F300D4 1A033118
	v_mfma_f32_16x16x32_fp8_fp8 v[212:215], a[26:27], a[154:155], v[212:215]// 000000004540: D3F300D4 1F53351A
	v_mfma_f32_16x16x32_fp8_fp8 v[212:215], a[28:29], a[156:157], v[212:215]// 000000004548: D3F300D4 1F53391C
	v_mfma_f32_16x16x32_fp8_fp8 v[212:215], a[30:31], a[158:159], v[212:215]// 000000004550: D3F300D4 1F533D1E
	v_mfma_f32_16x16x32_fp8_fp8 v[216:219], a[24:25], a[168:169], 0// 000000004558: D3F300D8 1A035118
	v_mfma_f32_16x16x32_fp8_fp8 v[216:219], a[26:27], a[170:171], v[216:219]// 000000004560: D3F300D8 1F63551A
	buffer_load_dwordx4 a[92:95], v48, s[96:99], 0 offen offset:3072// 000000004568: E05C1C00 80985C30
	v_mfma_f32_16x16x32_fp8_fp8 v[216:219], a[28:29], a[172:173], v[216:219]// 000000004570: D3F300D8 1F63591C
	v_mfma_f32_16x16x32_fp8_fp8 v[216:219], a[30:31], a[174:175], v[216:219]// 000000004578: D3F300D8 1F635D1E
	v_mfma_f32_16x16x32_fp8_fp8 v[220:223], a[24:25], a[184:185], 0// 000000004580: D3F300DC 1A037118
	v_mfma_f32_16x16x32_fp8_fp8 v[220:223], a[26:27], a[186:187], v[220:223]// 000000004588: D3F300DC 1F73751A
	v_mfma_f32_16x16x32_fp8_fp8 v[220:223], a[28:29], a[188:189], v[220:223]// 000000004590: D3F300DC 1F73791C
	v_mfma_f32_16x16x32_fp8_fp8 v[220:223], a[30:31], a[190:191], v[220:223]// 000000004598: D3F300DC 1F737D1E
	s_waitcnt vmcnt(31)                                        // 0000000045A0: BF8C4F7F
	v_mfma_f32_16x16x32_fp8_fp8 v[224:227], a[40:41], a[136:137], 0// 0000000045A4: D3F300E0 1A031128
	v_mfma_f32_16x16x32_fp8_fp8 v[224:227], a[42:43], a[138:139], v[224:227]// 0000000045AC: D3F300E0 1F83152A
	buffer_load_dwordx4 a[104:107], v49, s[96:99], 0 offen offset:2048// 0000000045B4: E05C1800 80986831
	v_mfma_f32_16x16x32_fp8_fp8 v[224:227], a[44:45], a[140:141], v[224:227]// 0000000045BC: D3F300E0 1F83192C
	v_mfma_f32_16x16x32_fp8_fp8 v[224:227], a[46:47], a[142:143], v[224:227]// 0000000045C4: D3F300E0 1F831D2E
	v_mfma_f32_16x16x32_fp8_fp8 v[228:231], a[40:41], a[152:153], 0// 0000000045CC: D3F300E4 1A033128
	v_mfma_f32_16x16x32_fp8_fp8 v[228:231], a[42:43], a[154:155], v[228:231]// 0000000045D4: D3F300E4 1F93352A
	v_mfma_f32_16x16x32_fp8_fp8 v[228:231], a[44:45], a[156:157], v[228:231]// 0000000045DC: D3F300E4 1F93392C
	v_mfma_f32_16x16x32_fp8_fp8 v[228:231], a[46:47], a[158:159], v[228:231]// 0000000045E4: D3F300E4 1F933D2E
	v_mfma_f32_16x16x32_fp8_fp8 v[232:235], a[40:41], a[168:169], 0// 0000000045EC: D3F300E8 1A035128
	v_mfma_f32_16x16x32_fp8_fp8 v[232:235], a[42:43], a[170:171], v[232:235]// 0000000045F4: D3F300E8 1FA3552A
	buffer_load_dwordx4 a[108:111], v49, s[96:99], 0 offen offset:3072// 0000000045FC: E05C1C00 80986C31
	v_mfma_f32_16x16x32_fp8_fp8 v[232:235], a[44:45], a[172:173], v[232:235]// 000000004604: D3F300E8 1FA3592C
	v_mfma_f32_16x16x32_fp8_fp8 v[232:235], a[46:47], a[174:175], v[232:235]// 00000000460C: D3F300E8 1FA35D2E
	v_mfma_f32_16x16x32_fp8_fp8 v[236:239], a[40:41], a[184:185], 0// 000000004614: D3F300EC 1A037128
	v_mfma_f32_16x16x32_fp8_fp8 v[236:239], a[42:43], a[186:187], v[236:239]// 00000000461C: D3F300EC 1FB3752A
	v_mfma_f32_16x16x32_fp8_fp8 v[236:239], a[44:45], a[188:189], v[236:239]// 000000004624: D3F300EC 1FB3792C
	v_mfma_f32_16x16x32_fp8_fp8 v[236:239], a[46:47], a[190:191], v[236:239]// 00000000462C: D3F300EC 1FB37D2E
	s_waitcnt vmcnt(31)                                        // 000000004634: BF8C4F7F
	v_mfma_f32_16x16x32_fp8_fp8 v[240:243], a[56:57], a[136:137], 0// 000000004638: D3F300F0 1A031138
	v_mfma_f32_16x16x32_fp8_fp8 v[240:243], a[58:59], a[138:139], v[240:243]// 000000004640: D3F300F0 1FC3153A
	buffer_load_dwordx4 a[120:123], v50, s[96:99], 0 offen offset:2048// 000000004648: E05C1800 80987832
	v_mfma_f32_16x16x32_fp8_fp8 v[240:243], a[60:61], a[140:141], v[240:243]// 000000004650: D3F300F0 1FC3193C
	v_mfma_f32_16x16x32_fp8_fp8 v[240:243], a[62:63], a[142:143], v[240:243]// 000000004658: D3F300F0 1FC31D3E
	v_mfma_f32_16x16x32_fp8_fp8 v[244:247], a[56:57], a[152:153], 0// 000000004660: D3F300F4 1A033138
	v_mfma_f32_16x16x32_fp8_fp8 v[244:247], a[58:59], a[154:155], v[244:247]// 000000004668: D3F300F4 1FD3353A
	v_mfma_f32_16x16x32_fp8_fp8 v[244:247], a[60:61], a[156:157], v[244:247]// 000000004670: D3F300F4 1FD3393C
	v_mfma_f32_16x16x32_fp8_fp8 v[244:247], a[62:63], a[158:159], v[244:247]// 000000004678: D3F300F4 1FD33D3E
	v_mfma_f32_16x16x32_fp8_fp8 v[248:251], a[56:57], a[168:169], 0// 000000004680: D3F300F8 1A035138
	v_mfma_f32_16x16x32_fp8_fp8 v[248:251], a[58:59], a[170:171], v[248:251]// 000000004688: D3F300F8 1FE3553A
	buffer_load_dwordx4 a[124:127], v50, s[96:99], 0 offen offset:3072// 000000004690: E05C1C00 80987C32
	v_mfma_f32_16x16x32_fp8_fp8 v[248:251], a[60:61], a[172:173], v[248:251]// 000000004698: D3F300F8 1FE3593C
	v_mfma_f32_16x16x32_fp8_fp8 v[248:251], a[62:63], a[174:175], v[248:251]// 0000000046A0: D3F300F8 1FE35D3E
	v_mfma_f32_16x16x32_fp8_fp8 v[252:255], a[56:57], a[184:185], 0// 0000000046A8: D3F300FC 1A037138
	v_mfma_f32_16x16x32_fp8_fp8 v[252:255], a[58:59], a[186:187], v[252:255]// 0000000046B0: D3F300FC 1FF3753A
	v_mfma_f32_16x16x32_fp8_fp8 v[252:255], a[60:61], a[188:189], v[252:255]// 0000000046B8: D3F300FC 1FF3793C
	v_mfma_f32_16x16x32_fp8_fp8 v[252:255], a[62:63], a[190:191], v[252:255]// 0000000046C0: D3F300FC 1FF37D3E
	v_mul_f32_dpp v60, v37, v25 row_newbcast:2 row_mask:0xf bank_mask:0xf// 0000000046C8: 0A7832FA FF015225
	v_mov_b32_e32 v61, v60                                     // 0000000046D0: 7E7A033C
	v_pk_fma_f32 v[64:65], v[192:193], v[60:61], v[64:65]      // 0000000046D4: D3B04040 1D0279C0
	v_pk_fma_f32 v[66:67], v[194:195], v[60:61], v[66:67]      // 0000000046DC: D3B04042 1D0A79C2
	v_pk_fma_f32 v[80:81], v[208:209], v[60:61], v[80:81]      // 0000000046E4: D3B04050 1D4279D0
	v_pk_fma_f32 v[82:83], v[210:211], v[60:61], v[82:83]      // 0000000046EC: D3B04052 1D4A79D2
	v_mul_f32_dpp v60, v37, v25 row_newbcast:3 row_mask:0xf bank_mask:0xf// 0000000046F4: 0A7832FA FF015325
	v_mov_b32_e32 v61, v60                                     // 0000000046FC: 7E7A033C
	v_pk_fma_f32 v[96:97], v[224:225], v[60:61], v[96:97]      // 000000004700: D3B04060 1D8279E0
	v_pk_fma_f32 v[98:99], v[226:227], v[60:61], v[98:99]      // 000000004708: D3B04062 1D8A79E2
	v_pk_fma_f32 v[112:113], v[240:241], v[60:61], v[112:113]  // 000000004710: D3B04070 1DC279F0
	v_pk_fma_f32 v[114:115], v[242:243], v[60:61], v[114:115]  // 000000004718: D3B04072 1DCA79F2
	v_mul_f32_dpp v60, v37, v26 row_newbcast:2 row_mask:0xf bank_mask:0xf// 000000004720: 0A7834FA FF015225
	v_mov_b32_e32 v61, v60                                     // 000000004728: 7E7A033C
	v_pk_fma_f32 v[68:69], v[196:197], v[60:61], v[68:69]      // 00000000472C: D3B04044 1D1279C4
	v_pk_fma_f32 v[70:71], v[198:199], v[60:61], v[70:71]      // 000000004734: D3B04046 1D1A79C6
	v_pk_fma_f32 v[84:85], v[212:213], v[60:61], v[84:85]      // 00000000473C: D3B04054 1D5279D4
	v_pk_fma_f32 v[86:87], v[214:215], v[60:61], v[86:87]      // 000000004744: D3B04056 1D5A79D6
	v_mul_f32_dpp v60, v37, v26 row_newbcast:3 row_mask:0xf bank_mask:0xf// 00000000474C: 0A7834FA FF015325
	v_mov_b32_e32 v61, v60                                     // 000000004754: 7E7A033C
	v_pk_fma_f32 v[100:101], v[228:229], v[60:61], v[100:101]  // 000000004758: D3B04064 1D9279E4
	v_pk_fma_f32 v[102:103], v[230:231], v[60:61], v[102:103]  // 000000004760: D3B04066 1D9A79E6
	v_pk_fma_f32 v[116:117], v[244:245], v[60:61], v[116:117]  // 000000004768: D3B04074 1DD279F4
	v_pk_fma_f32 v[118:119], v[246:247], v[60:61], v[118:119]  // 000000004770: D3B04076 1DDA79F6
	v_mul_f32_dpp v60, v37, v27 row_newbcast:2 row_mask:0xf bank_mask:0xf// 000000004778: 0A7836FA FF015225
	v_mov_b32_e32 v61, v60                                     // 000000004780: 7E7A033C
	v_pk_fma_f32 v[72:73], v[200:201], v[60:61], v[72:73]      // 000000004784: D3B04048 1D2279C8
	v_pk_fma_f32 v[74:75], v[202:203], v[60:61], v[74:75]      // 00000000478C: D3B0404A 1D2A79CA
	v_pk_fma_f32 v[88:89], v[216:217], v[60:61], v[88:89]      // 000000004794: D3B04058 1D6279D8
	v_pk_fma_f32 v[90:91], v[218:219], v[60:61], v[90:91]      // 00000000479C: D3B0405A 1D6A79DA
	v_mul_f32_dpp v60, v37, v27 row_newbcast:3 row_mask:0xf bank_mask:0xf// 0000000047A4: 0A7836FA FF015325
	v_mov_b32_e32 v61, v60                                     // 0000000047AC: 7E7A033C
	v_pk_fma_f32 v[104:105], v[232:233], v[60:61], v[104:105]  // 0000000047B0: D3B04068 1DA279E8
	v_pk_fma_f32 v[106:107], v[234:235], v[60:61], v[106:107]  // 0000000047B8: D3B0406A 1DAA79EA
	v_pk_fma_f32 v[120:121], v[248:249], v[60:61], v[120:121]  // 0000000047C0: D3B04078 1DE279F8
	v_pk_fma_f32 v[122:123], v[250:251], v[60:61], v[122:123]  // 0000000047C8: D3B0407A 1DEA79FA
	v_mul_f32_dpp v60, v37, v28 row_newbcast:2 row_mask:0xf bank_mask:0xf// 0000000047D0: 0A7838FA FF015225
	v_mov_b32_e32 v61, v60                                     // 0000000047D8: 7E7A033C
	v_pk_fma_f32 v[76:77], v[204:205], v[60:61], v[76:77]      // 0000000047DC: D3B0404C 1D3279CC
	v_pk_fma_f32 v[78:79], v[206:207], v[60:61], v[78:79]      // 0000000047E4: D3B0404E 1D3A79CE
	v_pk_fma_f32 v[92:93], v[220:221], v[60:61], v[92:93]      // 0000000047EC: D3B0405C 1D7279DC
	v_pk_fma_f32 v[94:95], v[222:223], v[60:61], v[94:95]      // 0000000047F4: D3B0405E 1D7A79DE
	v_mul_f32_dpp v60, v37, v28 row_newbcast:3 row_mask:0xf bank_mask:0xf// 0000000047FC: 0A7838FA FF015325
	v_mov_b32_e32 v61, v60                                     // 000000004804: 7E7A033C
	v_pk_fma_f32 v[108:109], v[236:237], v[60:61], v[108:109]  // 000000004808: D3B0406C 1DB279EC
	v_pk_fma_f32 v[110:111], v[238:239], v[60:61], v[110:111]  // 000000004810: D3B0406E 1DBA79EE
	v_pk_fma_f32 v[124:125], v[252:253], v[60:61], v[124:125]  // 000000004818: D3B0407C 1DF279FC
	v_pk_fma_f32 v[126:127], v[254:255], v[60:61], v[126:127]  // 000000004820: D3B0407E 1DFA79FE
	s_add_u32 s56, 0x100, s76                                  // 000000004828: 80384CFF 00000100
	s_cmp_lt_u32 s56, s77                                      // 000000004830: BF0A4D38
	s_cselect_b32 s4, s4, 0                                    // 000000004834: 85048004
	s_add_u32 s32, s4, s32                                     // 000000004838: 80202004
	s_addc_u32 s33, 0, s33                                     // 00000000483C: 82212180
	s_waitcnt vmcnt(8)                                         // 000000004840: BF8C0F78
	s_barrier                                                  // 000000004844: BF8A0000
	v_mfma_f32_16x16x32_fp8_fp8 v[192:195], a[64:65], a[128:129], 0// 000000004848: D3F300C0 1A030140
	v_mfma_f32_16x16x32_fp8_fp8 v[192:195], a[66:67], a[130:131], v[192:195]// 000000004850: D3F300C0 1F030542
	buffer_load_dwordx4 a[0:3], v47, s[24:27], 0 offen         // 000000004858: E05C1000 8086002F
	v_mfma_f32_16x16x32_fp8_fp8 v[192:195], a[68:69], a[132:133], v[192:195]// 000000004860: D3F300C0 1F030944
	v_mfma_f32_16x16x32_fp8_fp8 v[192:195], a[70:71], a[134:135], v[192:195]// 000000004868: D3F300C0 1F030D46
	buffer_load_dword v37, v17, s[32:35], 0 offen              // 000000004870: E0501000 80082511
	v_mfma_f32_16x16x32_fp8_fp8 v[196:199], a[64:65], a[144:145], 0// 000000004878: D3F300C4 1A032140
	v_mfma_f32_16x16x32_fp8_fp8 v[196:199], a[66:67], a[146:147], v[196:199]// 000000004880: D3F300C4 1F132542
	v_mfma_f32_16x16x32_fp8_fp8 v[196:199], a[68:69], a[148:149], v[196:199]// 000000004888: D3F300C4 1F132944
	v_mfma_f32_16x16x32_fp8_fp8 v[196:199], a[70:71], a[150:151], v[196:199]// 000000004890: D3F300C4 1F132D46
	v_mfma_f32_16x16x32_fp8_fp8 v[200:203], a[64:65], a[160:161], 0// 000000004898: D3F300C8 1A034140
	v_mfma_f32_16x16x32_fp8_fp8 v[200:203], a[66:67], a[162:163], v[200:203]// 0000000048A0: D3F300C8 1F234542
	buffer_load_dwordx4 a[4:7], v47, s[24:27], 0 offen offset:1024// 0000000048A8: E05C1400 8086042F
	v_mfma_f32_16x16x32_fp8_fp8 v[200:203], a[68:69], a[164:165], v[200:203]// 0000000048B0: D3F300C8 1F234944
	v_mfma_f32_16x16x32_fp8_fp8 v[200:203], a[70:71], a[166:167], v[200:203]// 0000000048B8: D3F300C8 1F234D46
	v_mfma_f32_16x16x32_fp8_fp8 v[204:207], a[64:65], a[176:177], 0// 0000000048C0: D3F300CC 1A036140
	v_mfma_f32_16x16x32_fp8_fp8 v[204:207], a[66:67], a[178:179], v[204:207]// 0000000048C8: D3F300CC 1F336542
	v_mfma_f32_16x16x32_fp8_fp8 v[204:207], a[68:69], a[180:181], v[204:207]// 0000000048D0: D3F300CC 1F336944
	v_mfma_f32_16x16x32_fp8_fp8 v[204:207], a[70:71], a[182:183], v[204:207]// 0000000048D8: D3F300CC 1F336D46
	v_mfma_f32_16x16x32_fp8_fp8 v[208:211], a[80:81], a[128:129], 0// 0000000048E0: D3F300D0 1A030150
	v_mfma_f32_16x16x32_fp8_fp8 v[208:211], a[82:83], a[130:131], v[208:211]// 0000000048E8: D3F300D0 1F430552
	buffer_load_dwordx4 a[16:19], v48, s[24:27], 0 offen       // 0000000048F0: E05C1000 80861030
	v_mfma_f32_16x16x32_fp8_fp8 v[208:211], a[84:85], a[132:133], v[208:211]// 0000000048F8: D3F300D0 1F430954
	v_mfma_f32_16x16x32_fp8_fp8 v[208:211], a[86:87], a[134:135], v[208:211]// 000000004900: D3F300D0 1F430D56
	v_mfma_f32_16x16x32_fp8_fp8 v[212:215], a[80:81], a[144:145], 0// 000000004908: D3F300D4 1A032150
	v_mfma_f32_16x16x32_fp8_fp8 v[212:215], a[82:83], a[146:147], v[212:215]// 000000004910: D3F300D4 1F532552
	v_mfma_f32_16x16x32_fp8_fp8 v[212:215], a[84:85], a[148:149], v[212:215]// 000000004918: D3F300D4 1F532954
	v_mfma_f32_16x16x32_fp8_fp8 v[212:215], a[86:87], a[150:151], v[212:215]// 000000004920: D3F300D4 1F532D56
	v_mfma_f32_16x16x32_fp8_fp8 v[216:219], a[80:81], a[160:161], 0// 000000004928: D3F300D8 1A034150
	v_mfma_f32_16x16x32_fp8_fp8 v[216:219], a[82:83], a[162:163], v[216:219]// 000000004930: D3F300D8 1F634552
	buffer_load_dwordx4 a[20:23], v48, s[24:27], 0 offen offset:1024// 000000004938: E05C1400 80861430
	v_mfma_f32_16x16x32_fp8_fp8 v[216:219], a[84:85], a[164:165], v[216:219]// 000000004940: D3F300D8 1F634954
	v_mfma_f32_16x16x32_fp8_fp8 v[216:219], a[86:87], a[166:167], v[216:219]// 000000004948: D3F300D8 1F634D56
	v_mfma_f32_16x16x32_fp8_fp8 v[220:223], a[80:81], a[176:177], 0// 000000004950: D3F300DC 1A036150
	v_mfma_f32_16x16x32_fp8_fp8 v[220:223], a[82:83], a[178:179], v[220:223]// 000000004958: D3F300DC 1F736552
	v_mfma_f32_16x16x32_fp8_fp8 v[220:223], a[84:85], a[180:181], v[220:223]// 000000004960: D3F300DC 1F736954
	v_mfma_f32_16x16x32_fp8_fp8 v[220:223], a[86:87], a[182:183], v[220:223]// 000000004968: D3F300DC 1F736D56
	s_waitcnt vmcnt(13)                                        // 000000004970: BF8C0F7D
	v_mfma_f32_16x16x32_fp8_fp8 v[224:227], a[96:97], a[128:129], 0// 000000004974: D3F300E0 1A030160
	v_mfma_f32_16x16x32_fp8_fp8 v[224:227], a[98:99], a[130:131], v[224:227]// 00000000497C: D3F300E0 1F830562
	buffer_load_dwordx4 a[32:35], v49, s[24:27], 0 offen       // 000000004984: E05C1000 80862031
	v_mfma_f32_16x16x32_fp8_fp8 v[224:227], a[100:101], a[132:133], v[224:227]// 00000000498C: D3F300E0 1F830964
	v_mfma_f32_16x16x32_fp8_fp8 v[224:227], a[102:103], a[134:135], v[224:227]// 000000004994: D3F300E0 1F830D66
	ds_read_b128 a[192:195], v2 offset:18560                   // 00000000499C: DBFE4880 C0000002
	ds_read_b128 a[196:199], v2 offset:18624                   // 0000000049A4: DBFE48C0 C4000002
	ds_read_b32 v29, v3 offset:35072                           // 0000000049AC: D86C8900 1D000003
	ds_read_b32 v30, v3 offset:35328                           // 0000000049B4: D86C8A00 1E000003
	v_mfma_f32_16x16x32_fp8_fp8 v[228:231], a[96:97], a[144:145], 0// 0000000049BC: D3F300E4 1A032160
	v_mfma_f32_16x16x32_fp8_fp8 v[228:231], a[98:99], a[146:147], v[228:231]// 0000000049C4: D3F300E4 1F932562
	v_mfma_f32_16x16x32_fp8_fp8 v[228:231], a[100:101], a[148:149], v[228:231]// 0000000049CC: D3F300E4 1F932964
	v_mfma_f32_16x16x32_fp8_fp8 v[228:231], a[102:103], a[150:151], v[228:231]// 0000000049D4: D3F300E4 1F932D66
	ds_read_b128 a[200:203], v2 offset:18688                   // 0000000049DC: DBFE4900 C8000002
	ds_read_b128 a[204:207], v2 offset:18752                   // 0000000049E4: DBFE4940 CC000002
	ds_read_b32 v31, v3 offset:36096                           // 0000000049EC: D86C8D00 1F000003
	ds_read_b32 v32, v3 offset:36352                           // 0000000049F4: D86C8E00 20000003
	v_mfma_f32_16x16x32_fp8_fp8 v[232:235], a[96:97], a[160:161], 0// 0000000049FC: D3F300E8 1A034160
	v_mfma_f32_16x16x32_fp8_fp8 v[232:235], a[98:99], a[162:163], v[232:235]// 000000004A04: D3F300E8 1FA34562
	buffer_load_dwordx4 a[36:39], v49, s[24:27], 0 offen offset:1024// 000000004A0C: E05C1400 80862431
	v_mfma_f32_16x16x32_fp8_fp8 v[232:235], a[100:101], a[164:165], v[232:235]// 000000004A14: D3F300E8 1FA34964
	v_mfma_f32_16x16x32_fp8_fp8 v[232:235], a[102:103], a[166:167], v[232:235]// 000000004A1C: D3F300E8 1FA34D66
	ds_read_b128 a[208:211], v2 offset:19584                   // 000000004A24: DBFE4C80 D0000002
	ds_read_b128 a[212:215], v2 offset:19648                   // 000000004A2C: DBFE4CC0 D4000002
	ds_read_b32 v33, v3 offset:35584                           // 000000004A34: D86C8B00 21000003
	ds_read_b32 v34, v3 offset:35840                           // 000000004A3C: D86C8C00 22000003
	v_mfma_f32_16x16x32_fp8_fp8 v[236:239], a[96:97], a[176:177], 0// 000000004A44: D3F300EC 1A036160
	v_mfma_f32_16x16x32_fp8_fp8 v[236:239], a[98:99], a[178:179], v[236:239]// 000000004A4C: D3F300EC 1FB36562
	v_mfma_f32_16x16x32_fp8_fp8 v[236:239], a[100:101], a[180:181], v[236:239]// 000000004A54: D3F300EC 1FB36964
	v_mfma_f32_16x16x32_fp8_fp8 v[236:239], a[102:103], a[182:183], v[236:239]// 000000004A5C: D3F300EC 1FB36D66
	ds_read_b128 a[216:219], v2 offset:19712                   // 000000004A64: DBFE4D00 D8000002
	ds_read_b128 a[220:223], v2 offset:19776                   // 000000004A6C: DBFE4D40 DC000002
	ds_read_b32 v35, v3 offset:36608                           // 000000004A74: D86C8F00 23000003
	ds_read_b32 v36, v3 offset:36864                           // 000000004A7C: D86C9000 24000003
	s_waitcnt vmcnt(13)                                        // 000000004A84: BF8C0F7D
	v_mfma_f32_16x16x32_fp8_fp8 v[240:243], a[112:113], a[128:129], 0// 000000004A88: D3F300F0 1A030170
	v_mfma_f32_16x16x32_fp8_fp8 v[240:243], a[114:115], a[130:131], v[240:243]// 000000004A90: D3F300F0 1FC30572
	buffer_load_dwordx4 a[48:51], v50, s[24:27], 0 offen       // 000000004A98: E05C1000 80863032
	v_mfma_f32_16x16x32_fp8_fp8 v[240:243], a[116:117], a[132:133], v[240:243]// 000000004AA0: D3F300F0 1FC30974
	v_mfma_f32_16x16x32_fp8_fp8 v[240:243], a[118:119], a[134:135], v[240:243]// 000000004AA8: D3F300F0 1FC30D76
	ds_read_b128 a[224:227], v2 offset:20608                   // 000000004AB0: DBFE5080 E0000002
	ds_read_b128 a[228:231], v2 offset:20672                   // 000000004AB8: DBFE50C0 E4000002
	v_mfma_f32_16x16x32_fp8_fp8 v[244:247], a[112:113], a[144:145], 0// 000000004AC0: D3F300F4 1A032170
	v_mfma_f32_16x16x32_fp8_fp8 v[244:247], a[114:115], a[146:147], v[244:247]// 000000004AC8: D3F300F4 1FD32572
	v_mfma_f32_16x16x32_fp8_fp8 v[244:247], a[116:117], a[148:149], v[244:247]// 000000004AD0: D3F300F4 1FD32974
	v_mfma_f32_16x16x32_fp8_fp8 v[244:247], a[118:119], a[150:151], v[244:247]// 000000004AD8: D3F300F4 1FD32D76
	ds_read_b128 a[232:235], v2 offset:20736                   // 000000004AE0: DBFE5100 E8000002
	ds_read_b128 a[236:239], v2 offset:20800                   // 000000004AE8: DBFE5140 EC000002
	v_mfma_f32_16x16x32_fp8_fp8 v[248:251], a[112:113], a[160:161], 0// 000000004AF0: D3F300F8 1A034170
	v_mfma_f32_16x16x32_fp8_fp8 v[248:251], a[114:115], a[162:163], v[248:251]// 000000004AF8: D3F300F8 1FE34572
	buffer_load_dwordx4 a[52:55], v50, s[24:27], 0 offen offset:1024// 000000004B00: E05C1400 80863432
	v_mfma_f32_16x16x32_fp8_fp8 v[248:251], a[116:117], a[164:165], v[248:251]// 000000004B08: D3F300F8 1FE34974
	v_mfma_f32_16x16x32_fp8_fp8 v[248:251], a[118:119], a[166:167], v[248:251]// 000000004B10: D3F300F8 1FE34D76
	ds_read_b128 a[240:243], v2 offset:21632                   // 000000004B18: DBFE5480 F0000002
	ds_read_b128 a[244:247], v2 offset:21696                   // 000000004B20: DBFE54C0 F4000002
	v_mfma_f32_16x16x32_fp8_fp8 v[252:255], a[112:113], a[176:177], 0// 000000004B28: D3F300FC 1A036170
	v_mfma_f32_16x16x32_fp8_fp8 v[252:255], a[114:115], a[178:179], v[252:255]// 000000004B30: D3F300FC 1FF36572
	v_mfma_f32_16x16x32_fp8_fp8 v[252:255], a[116:117], a[180:181], v[252:255]// 000000004B38: D3F300FC 1FF36974
	v_mfma_f32_16x16x32_fp8_fp8 v[252:255], a[118:119], a[182:183], v[252:255]// 000000004B40: D3F300FC 1FF36D76
	ds_read_b128 a[248:251], v2 offset:21760                   // 000000004B48: DBFE5500 F8000002
	ds_read_b128 a[252:255], v2 offset:21824                   // 000000004B50: DBFE5540 FC000002
	v_mul_f32_dpp v60, v38, v21 row_newbcast:0 row_mask:0xf bank_mask:0xf// 000000004B58: 0A782AFA FF015026
	v_mov_b32_e32 v61, v60                                     // 000000004B60: 7E7A033C
	v_pk_fma_f32 v[128:129], v[192:193], v[60:61], v[128:129]  // 000000004B64: D3B04080 1E0279C0
	v_pk_fma_f32 v[130:131], v[194:195], v[60:61], v[130:131]  // 000000004B6C: D3B04082 1E0A79C2
	v_pk_fma_f32 v[144:145], v[208:209], v[60:61], v[144:145]  // 000000004B74: D3B04090 1E4279D0
	v_pk_fma_f32 v[146:147], v[210:211], v[60:61], v[146:147]  // 000000004B7C: D3B04092 1E4A79D2
	v_mul_f32_dpp v60, v38, v21 row_newbcast:1 row_mask:0xf bank_mask:0xf// 000000004B84: 0A782AFA FF015126
	v_mov_b32_e32 v61, v60                                     // 000000004B8C: 7E7A033C
	v_pk_fma_f32 v[160:161], v[224:225], v[60:61], v[160:161]  // 000000004B90: D3B040A0 1E8279E0
	v_pk_fma_f32 v[162:163], v[226:227], v[60:61], v[162:163]  // 000000004B98: D3B040A2 1E8A79E2
	v_pk_fma_f32 v[176:177], v[240:241], v[60:61], v[176:177]  // 000000004BA0: D3B040B0 1EC279F0
	v_pk_fma_f32 v[178:179], v[242:243], v[60:61], v[178:179]  // 000000004BA8: D3B040B2 1ECA79F2
	v_mul_f32_dpp v60, v38, v22 row_newbcast:0 row_mask:0xf bank_mask:0xf// 000000004BB0: 0A782CFA FF015026
	v_mov_b32_e32 v61, v60                                     // 000000004BB8: 7E7A033C
	v_pk_fma_f32 v[132:133], v[196:197], v[60:61], v[132:133]  // 000000004BBC: D3B04084 1E1279C4
	v_pk_fma_f32 v[134:135], v[198:199], v[60:61], v[134:135]  // 000000004BC4: D3B04086 1E1A79C6
	v_pk_fma_f32 v[148:149], v[212:213], v[60:61], v[148:149]  // 000000004BCC: D3B04094 1E5279D4
	v_pk_fma_f32 v[150:151], v[214:215], v[60:61], v[150:151]  // 000000004BD4: D3B04096 1E5A79D6
	v_mul_f32_dpp v60, v38, v22 row_newbcast:1 row_mask:0xf bank_mask:0xf// 000000004BDC: 0A782CFA FF015126
	v_mov_b32_e32 v61, v60                                     // 000000004BE4: 7E7A033C
	v_pk_fma_f32 v[164:165], v[228:229], v[60:61], v[164:165]  // 000000004BE8: D3B040A4 1E9279E4
	v_pk_fma_f32 v[166:167], v[230:231], v[60:61], v[166:167]  // 000000004BF0: D3B040A6 1E9A79E6
	v_pk_fma_f32 v[180:181], v[244:245], v[60:61], v[180:181]  // 000000004BF8: D3B040B4 1ED279F4
	v_pk_fma_f32 v[182:183], v[246:247], v[60:61], v[182:183]  // 000000004C00: D3B040B6 1EDA79F6
	v_mul_f32_dpp v60, v38, v23 row_newbcast:0 row_mask:0xf bank_mask:0xf// 000000004C08: 0A782EFA FF015026
	v_mov_b32_e32 v61, v60                                     // 000000004C10: 7E7A033C
	v_pk_fma_f32 v[136:137], v[200:201], v[60:61], v[136:137]  // 000000004C14: D3B04088 1E2279C8
	v_pk_fma_f32 v[138:139], v[202:203], v[60:61], v[138:139]  // 000000004C1C: D3B0408A 1E2A79CA
	v_pk_fma_f32 v[152:153], v[216:217], v[60:61], v[152:153]  // 000000004C24: D3B04098 1E6279D8
	v_pk_fma_f32 v[154:155], v[218:219], v[60:61], v[154:155]  // 000000004C2C: D3B0409A 1E6A79DA
	v_mul_f32_dpp v60, v38, v23 row_newbcast:1 row_mask:0xf bank_mask:0xf// 000000004C34: 0A782EFA FF015126
	v_mov_b32_e32 v61, v60                                     // 000000004C3C: 7E7A033C
	v_pk_fma_f32 v[168:169], v[232:233], v[60:61], v[168:169]  // 000000004C40: D3B040A8 1EA279E8
	v_pk_fma_f32 v[170:171], v[234:235], v[60:61], v[170:171]  // 000000004C48: D3B040AA 1EAA79EA
	v_pk_fma_f32 v[184:185], v[248:249], v[60:61], v[184:185]  // 000000004C50: D3B040B8 1EE279F8
	v_pk_fma_f32 v[186:187], v[250:251], v[60:61], v[186:187]  // 000000004C58: D3B040BA 1EEA79FA
	v_mul_f32_dpp v60, v38, v24 row_newbcast:0 row_mask:0xf bank_mask:0xf// 000000004C60: 0A7830FA FF015026
	v_mov_b32_e32 v61, v60                                     // 000000004C68: 7E7A033C
	v_pk_fma_f32 v[140:141], v[204:205], v[60:61], v[140:141]  // 000000004C6C: D3B0408C 1E3279CC
	v_pk_fma_f32 v[142:143], v[206:207], v[60:61], v[142:143]  // 000000004C74: D3B0408E 1E3A79CE
	v_pk_fma_f32 v[156:157], v[220:221], v[60:61], v[156:157]  // 000000004C7C: D3B0409C 1E7279DC
	v_pk_fma_f32 v[158:159], v[222:223], v[60:61], v[158:159]  // 000000004C84: D3B0409E 1E7A79DE
	v_mul_f32_dpp v60, v38, v24 row_newbcast:1 row_mask:0xf bank_mask:0xf// 000000004C8C: 0A7830FA FF015126
	v_mov_b32_e32 v61, v60                                     // 000000004C94: 7E7A033C
	v_pk_fma_f32 v[172:173], v[236:237], v[60:61], v[172:173]  // 000000004C98: D3B040AC 1EB279EC
	v_pk_fma_f32 v[174:175], v[238:239], v[60:61], v[174:175]  // 000000004CA0: D3B040AE 1EBA79EE
	v_pk_fma_f32 v[188:189], v[252:253], v[60:61], v[188:189]  // 000000004CA8: D3B040BC 1EF279FC
	v_pk_fma_f32 v[190:191], v[254:255], v[60:61], v[190:191]  // 000000004CB0: D3B040BE 1EFA79FE
	s_waitcnt vmcnt(13)                                        // 000000004CB8: BF8C0F7D
	v_mfma_f32_16x16x32_fp8_fp8 v[192:195], a[72:73], a[136:137], 0// 000000004CBC: D3F300C0 1A031148
	v_mfma_f32_16x16x32_fp8_fp8 v[192:195], a[74:75], a[138:139], v[192:195]// 000000004CC4: D3F300C0 1F03154A
	buffer_load_dwordx4 a[8:11], v47, s[24:27], 0 offen offset:2048// 000000004CCC: E05C1800 8086082F
	v_mfma_f32_16x16x32_fp8_fp8 v[192:195], a[76:77], a[140:141], v[192:195]// 000000004CD4: D3F300C0 1F03194C
	v_mfma_f32_16x16x32_fp8_fp8 v[192:195], a[78:79], a[142:143], v[192:195]// 000000004CDC: D3F300C0 1F031D4E
	v_mfma_f32_16x16x32_fp8_fp8 v[196:199], a[72:73], a[152:153], 0// 000000004CE4: D3F300C4 1A033148
	v_mfma_f32_16x16x32_fp8_fp8 v[196:199], a[74:75], a[154:155], v[196:199]// 000000004CEC: D3F300C4 1F13354A
	v_mfma_f32_16x16x32_fp8_fp8 v[196:199], a[76:77], a[156:157], v[196:199]// 000000004CF4: D3F300C4 1F13394C
	v_mfma_f32_16x16x32_fp8_fp8 v[196:199], a[78:79], a[158:159], v[196:199]// 000000004CFC: D3F300C4 1F133D4E
	v_mfma_f32_16x16x32_fp8_fp8 v[200:203], a[72:73], a[168:169], 0// 000000004D04: D3F300C8 1A035148
	v_mfma_f32_16x16x32_fp8_fp8 v[200:203], a[74:75], a[170:171], v[200:203]// 000000004D0C: D3F300C8 1F23554A
	buffer_load_dwordx4 a[12:15], v47, s[24:27], 0 offen offset:3072// 000000004D14: E05C1C00 80860C2F
	v_mfma_f32_16x16x32_fp8_fp8 v[200:203], a[76:77], a[172:173], v[200:203]// 000000004D1C: D3F300C8 1F23594C
	v_mfma_f32_16x16x32_fp8_fp8 v[200:203], a[78:79], a[174:175], v[200:203]// 000000004D24: D3F300C8 1F235D4E
	v_mfma_f32_16x16x32_fp8_fp8 v[204:207], a[72:73], a[184:185], 0// 000000004D2C: D3F300CC 1A037148
	v_mfma_f32_16x16x32_fp8_fp8 v[204:207], a[74:75], a[186:187], v[204:207]// 000000004D34: D3F300CC 1F33754A
	v_mfma_f32_16x16x32_fp8_fp8 v[204:207], a[76:77], a[188:189], v[204:207]// 000000004D3C: D3F300CC 1F33794C
	v_mfma_f32_16x16x32_fp8_fp8 v[204:207], a[78:79], a[190:191], v[204:207]// 000000004D44: D3F300CC 1F337D4E
	s_waitcnt vmcnt(13)                                        // 000000004D4C: BF8C0F7D
	v_mfma_f32_16x16x32_fp8_fp8 v[208:211], a[88:89], a[136:137], 0// 000000004D50: D3F300D0 1A031158
	v_mfma_f32_16x16x32_fp8_fp8 v[208:211], a[90:91], a[138:139], v[208:211]// 000000004D58: D3F300D0 1F43155A
	buffer_load_dwordx4 a[24:27], v48, s[24:27], 0 offen offset:2048// 000000004D60: E05C1800 80861830
	v_mfma_f32_16x16x32_fp8_fp8 v[208:211], a[92:93], a[140:141], v[208:211]// 000000004D68: D3F300D0 1F43195C
	v_mfma_f32_16x16x32_fp8_fp8 v[208:211], a[94:95], a[142:143], v[208:211]// 000000004D70: D3F300D0 1F431D5E
	v_mfma_f32_16x16x32_fp8_fp8 v[212:215], a[88:89], a[152:153], 0// 000000004D78: D3F300D4 1A033158
	v_mfma_f32_16x16x32_fp8_fp8 v[212:215], a[90:91], a[154:155], v[212:215]// 000000004D80: D3F300D4 1F53355A
	v_mfma_f32_16x16x32_fp8_fp8 v[212:215], a[92:93], a[156:157], v[212:215]// 000000004D88: D3F300D4 1F53395C
	v_mfma_f32_16x16x32_fp8_fp8 v[212:215], a[94:95], a[158:159], v[212:215]// 000000004D90: D3F300D4 1F533D5E
	v_mfma_f32_16x16x32_fp8_fp8 v[216:219], a[88:89], a[168:169], 0// 000000004D98: D3F300D8 1A035158
	v_mfma_f32_16x16x32_fp8_fp8 v[216:219], a[90:91], a[170:171], v[216:219]// 000000004DA0: D3F300D8 1F63555A
	buffer_load_dwordx4 a[28:31], v48, s[24:27], 0 offen offset:3072// 000000004DA8: E05C1C00 80861C30
	v_mfma_f32_16x16x32_fp8_fp8 v[216:219], a[92:93], a[172:173], v[216:219]// 000000004DB0: D3F300D8 1F63595C
	v_mfma_f32_16x16x32_fp8_fp8 v[216:219], a[94:95], a[174:175], v[216:219]// 000000004DB8: D3F300D8 1F635D5E
	v_mfma_f32_16x16x32_fp8_fp8 v[220:223], a[88:89], a[184:185], 0// 000000004DC0: D3F300DC 1A037158
	v_mfma_f32_16x16x32_fp8_fp8 v[220:223], a[90:91], a[186:187], v[220:223]// 000000004DC8: D3F300DC 1F73755A
	v_mfma_f32_16x16x32_fp8_fp8 v[220:223], a[92:93], a[188:189], v[220:223]// 000000004DD0: D3F300DC 1F73795C
	v_mfma_f32_16x16x32_fp8_fp8 v[220:223], a[94:95], a[190:191], v[220:223]// 000000004DD8: D3F300DC 1F737D5E
	s_waitcnt vmcnt(13)                                        // 000000004DE0: BF8C0F7D
	v_mfma_f32_16x16x32_fp8_fp8 v[224:227], a[104:105], a[136:137], 0// 000000004DE4: D3F300E0 1A031168
	v_mfma_f32_16x16x32_fp8_fp8 v[224:227], a[106:107], a[138:139], v[224:227]// 000000004DEC: D3F300E0 1F83156A
	buffer_load_dwordx4 a[40:43], v49, s[24:27], 0 offen offset:2048// 000000004DF4: E05C1800 80862831
	v_mfma_f32_16x16x32_fp8_fp8 v[224:227], a[108:109], a[140:141], v[224:227]// 000000004DFC: D3F300E0 1F83196C
	v_mfma_f32_16x16x32_fp8_fp8 v[224:227], a[110:111], a[142:143], v[224:227]// 000000004E04: D3F300E0 1F831D6E
	v_mfma_f32_16x16x32_fp8_fp8 v[228:231], a[104:105], a[152:153], 0// 000000004E0C: D3F300E4 1A033168
	v_mfma_f32_16x16x32_fp8_fp8 v[228:231], a[106:107], a[154:155], v[228:231]// 000000004E14: D3F300E4 1F93356A
	v_mfma_f32_16x16x32_fp8_fp8 v[228:231], a[108:109], a[156:157], v[228:231]// 000000004E1C: D3F300E4 1F93396C
	v_mfma_f32_16x16x32_fp8_fp8 v[228:231], a[110:111], a[158:159], v[228:231]// 000000004E24: D3F300E4 1F933D6E
	v_mfma_f32_16x16x32_fp8_fp8 v[232:235], a[104:105], a[168:169], 0// 000000004E2C: D3F300E8 1A035168
	v_mfma_f32_16x16x32_fp8_fp8 v[232:235], a[106:107], a[170:171], v[232:235]// 000000004E34: D3F300E8 1FA3556A
	buffer_load_dwordx4 a[44:47], v49, s[24:27], 0 offen offset:3072// 000000004E3C: E05C1C00 80862C31
	v_mfma_f32_16x16x32_fp8_fp8 v[232:235], a[108:109], a[172:173], v[232:235]// 000000004E44: D3F300E8 1FA3596C
	v_mfma_f32_16x16x32_fp8_fp8 v[232:235], a[110:111], a[174:175], v[232:235]// 000000004E4C: D3F300E8 1FA35D6E
	v_mfma_f32_16x16x32_fp8_fp8 v[236:239], a[104:105], a[184:185], 0// 000000004E54: D3F300EC 1A037168
	v_mfma_f32_16x16x32_fp8_fp8 v[236:239], a[106:107], a[186:187], v[236:239]// 000000004E5C: D3F300EC 1FB3756A
	v_mfma_f32_16x16x32_fp8_fp8 v[236:239], a[108:109], a[188:189], v[236:239]// 000000004E64: D3F300EC 1FB3796C
	v_mfma_f32_16x16x32_fp8_fp8 v[236:239], a[110:111], a[190:191], v[236:239]// 000000004E6C: D3F300EC 1FB37D6E
	s_waitcnt vmcnt(13)                                        // 000000004E74: BF8C0F7D
	v_mfma_f32_16x16x32_fp8_fp8 v[240:243], a[120:121], a[136:137], 0// 000000004E78: D3F300F0 1A031178
	v_mfma_f32_16x16x32_fp8_fp8 v[240:243], a[122:123], a[138:139], v[240:243]// 000000004E80: D3F300F0 1FC3157A
	buffer_load_dwordx4 a[56:59], v50, s[24:27], 0 offen offset:2048// 000000004E88: E05C1800 80863832
	v_mfma_f32_16x16x32_fp8_fp8 v[240:243], a[124:125], a[140:141], v[240:243]// 000000004E90: D3F300F0 1FC3197C
	v_mfma_f32_16x16x32_fp8_fp8 v[240:243], a[126:127], a[142:143], v[240:243]// 000000004E98: D3F300F0 1FC31D7E
	v_mfma_f32_16x16x32_fp8_fp8 v[244:247], a[120:121], a[152:153], 0// 000000004EA0: D3F300F4 1A033178
	v_mfma_f32_16x16x32_fp8_fp8 v[244:247], a[122:123], a[154:155], v[244:247]// 000000004EA8: D3F300F4 1FD3357A
	v_mfma_f32_16x16x32_fp8_fp8 v[244:247], a[124:125], a[156:157], v[244:247]// 000000004EB0: D3F300F4 1FD3397C
	v_mfma_f32_16x16x32_fp8_fp8 v[244:247], a[126:127], a[158:159], v[244:247]// 000000004EB8: D3F300F4 1FD33D7E
	v_mfma_f32_16x16x32_fp8_fp8 v[248:251], a[120:121], a[168:169], 0// 000000004EC0: D3F300F8 1A035178
	v_mfma_f32_16x16x32_fp8_fp8 v[248:251], a[122:123], a[170:171], v[248:251]// 000000004EC8: D3F300F8 1FE3557A
	buffer_load_dwordx4 a[60:63], v50, s[24:27], 0 offen offset:3072// 000000004ED0: E05C1C00 80863C32
	v_mfma_f32_16x16x32_fp8_fp8 v[248:251], a[124:125], a[172:173], v[248:251]// 000000004ED8: D3F300F8 1FE3597C
	v_mfma_f32_16x16x32_fp8_fp8 v[248:251], a[126:127], a[174:175], v[248:251]// 000000004EE0: D3F300F8 1FE35D7E
	v_mfma_f32_16x16x32_fp8_fp8 v[252:255], a[120:121], a[184:185], 0// 000000004EE8: D3F300FC 1A037178
	v_mfma_f32_16x16x32_fp8_fp8 v[252:255], a[122:123], a[186:187], v[252:255]// 000000004EF0: D3F300FC 1FF3757A
	v_mfma_f32_16x16x32_fp8_fp8 v[252:255], a[124:125], a[188:189], v[252:255]// 000000004EF8: D3F300FC 1FF3797C
	v_mfma_f32_16x16x32_fp8_fp8 v[252:255], a[126:127], a[190:191], v[252:255]// 000000004F00: D3F300FC 1FF37D7E
	v_mul_f32_dpp v60, v38, v25 row_newbcast:2 row_mask:0xf bank_mask:0xf// 000000004F08: 0A7832FA FF015226
	v_mov_b32_e32 v61, v60                                     // 000000004F10: 7E7A033C
	v_pk_fma_f32 v[128:129], v[192:193], v[60:61], v[128:129]  // 000000004F14: D3B04080 1E0279C0
	v_pk_fma_f32 v[130:131], v[194:195], v[60:61], v[130:131]  // 000000004F1C: D3B04082 1E0A79C2
	v_pk_fma_f32 v[144:145], v[208:209], v[60:61], v[144:145]  // 000000004F24: D3B04090 1E4279D0
	v_pk_fma_f32 v[146:147], v[210:211], v[60:61], v[146:147]  // 000000004F2C: D3B04092 1E4A79D2
	v_mul_f32_dpp v60, v38, v25 row_newbcast:3 row_mask:0xf bank_mask:0xf// 000000004F34: 0A7832FA FF015326
	v_mov_b32_e32 v61, v60                                     // 000000004F3C: 7E7A033C
	v_pk_fma_f32 v[160:161], v[224:225], v[60:61], v[160:161]  // 000000004F40: D3B040A0 1E8279E0
	v_pk_fma_f32 v[162:163], v[226:227], v[60:61], v[162:163]  // 000000004F48: D3B040A2 1E8A79E2
	v_pk_fma_f32 v[176:177], v[240:241], v[60:61], v[176:177]  // 000000004F50: D3B040B0 1EC279F0
	v_pk_fma_f32 v[178:179], v[242:243], v[60:61], v[178:179]  // 000000004F58: D3B040B2 1ECA79F2
	v_mul_f32_dpp v60, v38, v26 row_newbcast:2 row_mask:0xf bank_mask:0xf// 000000004F60: 0A7834FA FF015226
	v_mov_b32_e32 v61, v60                                     // 000000004F68: 7E7A033C
	v_pk_fma_f32 v[132:133], v[196:197], v[60:61], v[132:133]  // 000000004F6C: D3B04084 1E1279C4
	v_pk_fma_f32 v[134:135], v[198:199], v[60:61], v[134:135]  // 000000004F74: D3B04086 1E1A79C6
	v_pk_fma_f32 v[148:149], v[212:213], v[60:61], v[148:149]  // 000000004F7C: D3B04094 1E5279D4
	v_pk_fma_f32 v[150:151], v[214:215], v[60:61], v[150:151]  // 000000004F84: D3B04096 1E5A79D6
	v_mul_f32_dpp v60, v38, v26 row_newbcast:3 row_mask:0xf bank_mask:0xf// 000000004F8C: 0A7834FA FF015326
	v_mov_b32_e32 v61, v60                                     // 000000004F94: 7E7A033C
	v_pk_fma_f32 v[164:165], v[228:229], v[60:61], v[164:165]  // 000000004F98: D3B040A4 1E9279E4
	v_pk_fma_f32 v[166:167], v[230:231], v[60:61], v[166:167]  // 000000004FA0: D3B040A6 1E9A79E6
	v_pk_fma_f32 v[180:181], v[244:245], v[60:61], v[180:181]  // 000000004FA8: D3B040B4 1ED279F4
	v_pk_fma_f32 v[182:183], v[246:247], v[60:61], v[182:183]  // 000000004FB0: D3B040B6 1EDA79F6
	v_mul_f32_dpp v60, v38, v27 row_newbcast:2 row_mask:0xf bank_mask:0xf// 000000004FB8: 0A7836FA FF015226
	v_mov_b32_e32 v61, v60                                     // 000000004FC0: 7E7A033C
	v_pk_fma_f32 v[136:137], v[200:201], v[60:61], v[136:137]  // 000000004FC4: D3B04088 1E2279C8
	v_pk_fma_f32 v[138:139], v[202:203], v[60:61], v[138:139]  // 000000004FCC: D3B0408A 1E2A79CA
	v_pk_fma_f32 v[152:153], v[216:217], v[60:61], v[152:153]  // 000000004FD4: D3B04098 1E6279D8
	v_pk_fma_f32 v[154:155], v[218:219], v[60:61], v[154:155]  // 000000004FDC: D3B0409A 1E6A79DA
	v_mul_f32_dpp v60, v38, v27 row_newbcast:3 row_mask:0xf bank_mask:0xf// 000000004FE4: 0A7836FA FF015326
	v_mov_b32_e32 v61, v60                                     // 000000004FEC: 7E7A033C
	v_pk_fma_f32 v[168:169], v[232:233], v[60:61], v[168:169]  // 000000004FF0: D3B040A8 1EA279E8
	v_pk_fma_f32 v[170:171], v[234:235], v[60:61], v[170:171]  // 000000004FF8: D3B040AA 1EAA79EA
	v_pk_fma_f32 v[184:185], v[248:249], v[60:61], v[184:185]  // 000000005000: D3B040B8 1EE279F8
	v_pk_fma_f32 v[186:187], v[250:251], v[60:61], v[186:187]  // 000000005008: D3B040BA 1EEA79FA
	v_mul_f32_dpp v60, v38, v28 row_newbcast:2 row_mask:0xf bank_mask:0xf// 000000005010: 0A7838FA FF015226
	v_mov_b32_e32 v61, v60                                     // 000000005018: 7E7A033C
	v_pk_fma_f32 v[140:141], v[204:205], v[60:61], v[140:141]  // 00000000501C: D3B0408C 1E3279CC
	v_pk_fma_f32 v[142:143], v[206:207], v[60:61], v[142:143]  // 000000005024: D3B0408E 1E3A79CE
	v_pk_fma_f32 v[156:157], v[220:221], v[60:61], v[156:157]  // 00000000502C: D3B0409C 1E7279DC
	v_pk_fma_f32 v[158:159], v[222:223], v[60:61], v[158:159]  // 000000005034: D3B0409E 1E7A79DE
	v_mul_f32_dpp v60, v38, v28 row_newbcast:3 row_mask:0xf bank_mask:0xf// 00000000503C: 0A7838FA FF015326
	v_mov_b32_e32 v61, v60                                     // 000000005044: 7E7A033C
	v_pk_fma_f32 v[172:173], v[236:237], v[60:61], v[172:173]  // 000000005048: D3B040AC 1EB279EC
	v_pk_fma_f32 v[174:175], v[238:239], v[60:61], v[174:175]  // 000000005050: D3B040AE 1EBA79EE
	v_pk_fma_f32 v[188:189], v[252:253], v[60:61], v[188:189]  // 000000005058: D3B040BC 1EF279FC
	v_pk_fma_f32 v[190:191], v[254:255], v[60:61], v[190:191]  // 000000005060: D3B040BE 1EFA79FE
	s_add_u32 s56, 0x200, s76                                  // 000000005068: 80384CFF 00000200
	s_cmp_lt_u32 s56, s77                                      // 000000005070: BF0A4D38
	s_cselect_b32 s53, s53, 0                                  // 000000005074: 85358035
	s_cselect_b32 s3, s3, 0                                    // 000000005078: 85038003
	s_add_u32 s56, 0x200, s76                                  // 00000000507C: 80384CFF 00000200
	s_cmp_lt_u32 s56, s77                                      // 000000005084: BF0A4D38
	s_cselect_b32 s54, s54, 0                                  // 000000005088: 85368036
	s_add_u32 s20, s53, s20                                    // 00000000508C: 80141435
	s_addc_u32 s21, 0, s21                                     // 000000005090: 82151580
	s_add_u32 s28, s3, s28                                     // 000000005094: 801C1C03
	s_addc_u32 s29, 0, s29                                     // 000000005098: 821D1D80
	s_add_u32 s24, s54, s24                                    // 00000000509C: 80181836
	s_addc_u32 s25, 0, s25                                     // 0000000050A0: 82191980
	s_add_u32 s96, s94, s96                                    // 0000000050A4: 8060605E
	s_addc_u32 s97, 0, s97                                     // 0000000050A8: 82616180
	s_addk_i32 s76, 0x100                                      // 0000000050AC: B74C0100
	s_cmp_lt_i32 s76, s77                                      // 0000000050B0: BF044D4C
	s_cbranch_scc0 label_0D23                                  // 0000000050B4: BF840475
	s_waitcnt vmcnt(8) lgkmcnt(0)                              // 0000000050B8: BF8C0078
	s_barrier                                                  // 0000000050BC: BF8A0000
	v_mfma_f32_16x16x32_fp8_fp8 v[192:195], a[0:1], a[192:193], 0// 0000000050C0: D3F300C0 1A038100
	v_mfma_f32_16x16x32_fp8_fp8 v[192:195], a[2:3], a[194:195], v[192:195]// 0000000050C8: D3F300C0 1F038502
	buffer_load_dwordx4 a[64:67], v47, s[96:99], 0 offen       // 0000000050D0: E05C1000 8098402F
	v_mfma_f32_16x16x32_fp8_fp8 v[192:195], a[4:5], a[196:197], v[192:195]// 0000000050D8: D3F300C0 1F038904
	v_mfma_f32_16x16x32_fp8_fp8 v[192:195], a[6:7], a[198:199], v[192:195]// 0000000050E0: D3F300C0 1F038D06
	buffer_load_dword v43, s[20:23], 0 offen lds               // 0000000050E8: E0511000 8005002B
	s_mul_i32 s56, s80, s64                                    // 0000000050F0: 92384050
	v_lshl_add_u32 v45, v0, 2, s56                             // 0000000050F4: D1FD002D 00E10500
	s_add_u32 m0, 0x100, s48                                   // 0000000050FC: 807C30FF 00000100
	v_mfma_f32_16x16x32_fp8_fp8 v[196:199], a[0:1], a[208:209], 0// 000000005104: D3F300C4 1A03A100
	v_mfma_f32_16x16x32_fp8_fp8 v[196:199], a[2:3], a[210:211], v[196:199]// 00000000510C: D3F300C4 1F13A502
	v_mfma_f32_16x16x32_fp8_fp8 v[196:199], a[4:5], a[212:213], v[196:199]// 000000005114: D3F300C4 1F13A904
	v_mfma_f32_16x16x32_fp8_fp8 v[196:199], a[6:7], a[214:215], v[196:199]// 00000000511C: D3F300C4 1F13AD06
	buffer_load_dword v44, s[20:23], 0 offen lds               // 000000005124: E0511000 8005002C
	s_mul_i32 s56, s81, s64                                    // 00000000512C: 92384051
	v_lshl_add_u32 v46, v0, 2, s56                             // 000000005130: D1FD002E 00E10500
	s_add_u32 m0, 0x200, s48                                   // 000000005138: 807C30FF 00000200
	v_mfma_f32_16x16x32_fp8_fp8 v[200:203], a[0:1], a[224:225], 0// 000000005140: D3F300C8 1A03C100
	v_mfma_f32_16x16x32_fp8_fp8 v[200:203], a[2:3], a[226:227], v[200:203]// 000000005148: D3F300C8 1F23C502
	buffer_load_dwordx4 a[68:71], v47, s[96:99], 0 offen offset:1024// 000000005150: E05C1400 8098442F
	v_mfma_f32_16x16x32_fp8_fp8 v[200:203], a[4:5], a[228:229], v[200:203]// 000000005158: D3F300C8 1F23C904
	v_mfma_f32_16x16x32_fp8_fp8 v[200:203], a[6:7], a[230:231], v[200:203]// 000000005160: D3F300C8 1F23CD06
	buffer_load_dword v45, s[20:23], 0 offen lds               // 000000005168: E0511000 8005002D
	s_mul_i32 s56, s82, s64                                    // 000000005170: 92384052
	v_lshl_add_u32 v43, v0, 2, s56                             // 000000005174: D1FD002B 00E10500
	s_add_u32 m0, 0x300, s48                                   // 00000000517C: 807C30FF 00000300
	v_mfma_f32_16x16x32_fp8_fp8 v[204:207], a[0:1], a[240:241], 0// 000000005184: D3F300CC 1A03E100
	v_mfma_f32_16x16x32_fp8_fp8 v[204:207], a[2:3], a[242:243], v[204:207]// 00000000518C: D3F300CC 1F33E502
	v_mfma_f32_16x16x32_fp8_fp8 v[204:207], a[4:5], a[244:245], v[204:207]// 000000005194: D3F300CC 1F33E904
	v_mfma_f32_16x16x32_fp8_fp8 v[204:207], a[6:7], a[246:247], v[204:207]// 00000000519C: D3F300CC 1F33ED06
	buffer_load_dword v46, s[20:23], 0 offen lds               // 0000000051A4: E0511000 8005002E
	s_mul_i32 s56, s83, s64                                    // 0000000051AC: 92384053
	v_lshl_add_u32 v44, v0, 2, s56                             // 0000000051B0: D1FD002C 00E10500
	s_add_u32 m0, 0x400, s48                                   // 0000000051B8: 807C30FF 00000400
	v_mfma_f32_16x16x32_fp8_fp8 v[208:211], a[16:17], a[192:193], 0// 0000000051C0: D3F300D0 1A038110
	v_mfma_f32_16x16x32_fp8_fp8 v[208:211], a[18:19], a[194:195], v[208:211]// 0000000051C8: D3F300D0 1F438512
	buffer_load_dwordx4 a[80:83], v48, s[96:99], 0 offen       // 0000000051D0: E05C1000 80985030
	v_mfma_f32_16x16x32_fp8_fp8 v[208:211], a[20:21], a[196:197], v[208:211]// 0000000051D8: D3F300D0 1F438914
	v_mfma_f32_16x16x32_fp8_fp8 v[208:211], a[22:23], a[198:199], v[208:211]// 0000000051E0: D3F300D0 1F438D16
	buffer_load_dword v43, s[20:23], 0 offen lds               // 0000000051E8: E0511000 8005002B
	s_mul_i32 s56, s84, s64                                    // 0000000051F0: 92384054
	v_lshl_add_u32 v45, v0, 2, s56                             // 0000000051F4: D1FD002D 00E10500
	s_add_u32 m0, 0x500, s48                                   // 0000000051FC: 807C30FF 00000500
	v_mfma_f32_16x16x32_fp8_fp8 v[212:215], a[16:17], a[208:209], 0// 000000005204: D3F300D4 1A03A110
	v_mfma_f32_16x16x32_fp8_fp8 v[212:215], a[18:19], a[210:211], v[212:215]// 00000000520C: D3F300D4 1F53A512
	v_mfma_f32_16x16x32_fp8_fp8 v[212:215], a[20:21], a[212:213], v[212:215]// 000000005214: D3F300D4 1F53A914
	v_mfma_f32_16x16x32_fp8_fp8 v[212:215], a[22:23], a[214:215], v[212:215]// 00000000521C: D3F300D4 1F53AD16
	buffer_load_dword v44, s[20:23], 0 offen lds               // 000000005224: E0511000 8005002C
	s_mul_i32 s56, s85, s64                                    // 00000000522C: 92384055
	v_lshl_add_u32 v46, v0, 2, s56                             // 000000005230: D1FD002E 00E10500
	s_add_u32 m0, 0x600, s48                                   // 000000005238: 807C30FF 00000600
	v_mfma_f32_16x16x32_fp8_fp8 v[216:219], a[16:17], a[224:225], 0// 000000005240: D3F300D8 1A03C110
	v_mfma_f32_16x16x32_fp8_fp8 v[216:219], a[18:19], a[226:227], v[216:219]// 000000005248: D3F300D8 1F63C512
	buffer_load_dwordx4 a[84:87], v48, s[96:99], 0 offen offset:1024// 000000005250: E05C1400 80985430
	v_mfma_f32_16x16x32_fp8_fp8 v[216:219], a[20:21], a[228:229], v[216:219]// 000000005258: D3F300D8 1F63C914
	v_mfma_f32_16x16x32_fp8_fp8 v[216:219], a[22:23], a[230:231], v[216:219]// 000000005260: D3F300D8 1F63CD16
	buffer_load_dword v45, s[20:23], 0 offen lds               // 000000005268: E0511000 8005002D
	s_mul_i32 s56, s86, s64                                    // 000000005270: 92384056
	v_lshl_add_u32 v43, v0, 2, s56                             // 000000005274: D1FD002B 00E10500
	s_add_u32 m0, 0x700, s48                                   // 00000000527C: 807C30FF 00000700
	v_mfma_f32_16x16x32_fp8_fp8 v[220:223], a[16:17], a[240:241], 0// 000000005284: D3F300DC 1A03E110
	v_mfma_f32_16x16x32_fp8_fp8 v[220:223], a[18:19], a[242:243], v[220:223]// 00000000528C: D3F300DC 1F73E512
	v_mfma_f32_16x16x32_fp8_fp8 v[220:223], a[20:21], a[244:245], v[220:223]// 000000005294: D3F300DC 1F73E914
	v_mfma_f32_16x16x32_fp8_fp8 v[220:223], a[22:23], a[246:247], v[220:223]// 00000000529C: D3F300DC 1F73ED16
	buffer_load_dword v46, s[20:23], 0 offen lds               // 0000000052A4: E0511000 8005002E
	s_mul_i32 s56, s87, s64                                    // 0000000052AC: 92384057
	v_lshl_add_u32 v44, v0, 2, s56                             // 0000000052B0: D1FD002C 00E10500
	s_add_u32 m0, 0x800, s48                                   // 0000000052B8: 807C30FF 00000800
	s_waitcnt vmcnt(31)                                        // 0000000052C0: BF8C4F7F
	v_mfma_f32_16x16x32_fp8_fp8 v[224:227], a[32:33], a[192:193], 0// 0000000052C4: D3F300E0 1A038120
	v_mfma_f32_16x16x32_fp8_fp8 v[224:227], a[34:35], a[194:195], v[224:227]// 0000000052CC: D3F300E0 1F838522
	buffer_load_dwordx4 a[96:99], v49, s[96:99], 0 offen       // 0000000052D4: E05C1000 80986031
	v_mfma_f32_16x16x32_fp8_fp8 v[224:227], a[36:37], a[196:197], v[224:227]// 0000000052DC: D3F300E0 1F838924
	v_mfma_f32_16x16x32_fp8_fp8 v[224:227], a[38:39], a[198:199], v[224:227]// 0000000052E4: D3F300E0 1F838D26
	buffer_load_dword v43, s[20:23], 0 offen lds               // 0000000052EC: E0511000 8005002B
	s_mul_i32 s56, s88, s64                                    // 0000000052F4: 92384058
	v_lshl_add_u32 v45, v0, 2, s56                             // 0000000052F8: D1FD002D 00E10500
	s_add_u32 m0, 0x900, s48                                   // 000000005300: 807C30FF 00000900
	v_mfma_f32_16x16x32_fp8_fp8 v[228:231], a[32:33], a[208:209], 0// 000000005308: D3F300E4 1A03A120
	v_mfma_f32_16x16x32_fp8_fp8 v[228:231], a[34:35], a[210:211], v[228:231]// 000000005310: D3F300E4 1F93A522
	v_mfma_f32_16x16x32_fp8_fp8 v[228:231], a[36:37], a[212:213], v[228:231]// 000000005318: D3F300E4 1F93A924
	v_mfma_f32_16x16x32_fp8_fp8 v[228:231], a[38:39], a[214:215], v[228:231]// 000000005320: D3F300E4 1F93AD26
	buffer_load_dword v44, s[20:23], 0 offen lds               // 000000005328: E0511000 8005002C
	s_mul_i32 s56, s89, s64                                    // 000000005330: 92384059
	v_lshl_add_u32 v46, v0, 2, s56                             // 000000005334: D1FD002E 00E10500
	s_add_u32 m0, 0xa00, s48                                   // 00000000533C: 807C30FF 00000A00
	v_mfma_f32_16x16x32_fp8_fp8 v[232:235], a[32:33], a[224:225], 0// 000000005344: D3F300E8 1A03C120
	v_mfma_f32_16x16x32_fp8_fp8 v[232:235], a[34:35], a[226:227], v[232:235]// 00000000534C: D3F300E8 1FA3C522
	buffer_load_dwordx4 a[100:103], v49, s[96:99], 0 offen offset:1024// 000000005354: E05C1400 80986431
	v_mfma_f32_16x16x32_fp8_fp8 v[232:235], a[36:37], a[228:229], v[232:235]// 00000000535C: D3F300E8 1FA3C924
	v_mfma_f32_16x16x32_fp8_fp8 v[232:235], a[38:39], a[230:231], v[232:235]// 000000005364: D3F300E8 1FA3CD26
	buffer_load_dword v45, s[20:23], 0 offen lds               // 00000000536C: E0511000 8005002D
	s_mul_i32 s56, s90, s64                                    // 000000005374: 9238405A
	v_lshl_add_u32 v43, v0, 2, s56                             // 000000005378: D1FD002B 00E10500
	s_add_u32 m0, 0xb00, s48                                   // 000000005380: 807C30FF 00000B00
	v_mfma_f32_16x16x32_fp8_fp8 v[236:239], a[32:33], a[240:241], 0// 000000005388: D3F300EC 1A03E120
	v_mfma_f32_16x16x32_fp8_fp8 v[236:239], a[34:35], a[242:243], v[236:239]// 000000005390: D3F300EC 1FB3E522
	v_mfma_f32_16x16x32_fp8_fp8 v[236:239], a[36:37], a[244:245], v[236:239]// 000000005398: D3F300EC 1FB3E924
	v_mfma_f32_16x16x32_fp8_fp8 v[236:239], a[38:39], a[246:247], v[236:239]// 0000000053A0: D3F300EC 1FB3ED26
	buffer_load_dword v46, s[20:23], 0 offen lds               // 0000000053A8: E0511000 8005002E
	s_mul_i32 s56, s91, s64                                    // 0000000053B0: 9238405B
	v_lshl_add_u32 v44, v0, 2, s56                             // 0000000053B4: D1FD002C 00E10500
	s_add_u32 m0, 0xc00, s48                                   // 0000000053BC: 807C30FF 00000C00
	s_waitcnt vmcnt(31)                                        // 0000000053C4: BF8C4F7F
	v_mfma_f32_16x16x32_fp8_fp8 v[240:243], a[48:49], a[192:193], 0// 0000000053C8: D3F300F0 1A038130
	v_mfma_f32_16x16x32_fp8_fp8 v[240:243], a[50:51], a[194:195], v[240:243]// 0000000053D0: D3F300F0 1FC38532
	buffer_load_dwordx4 a[112:115], v50, s[96:99], 0 offen     // 0000000053D8: E05C1000 80987032
	v_mfma_f32_16x16x32_fp8_fp8 v[240:243], a[52:53], a[196:197], v[240:243]// 0000000053E0: D3F300F0 1FC38934
	v_mfma_f32_16x16x32_fp8_fp8 v[240:243], a[54:55], a[198:199], v[240:243]// 0000000053E8: D3F300F0 1FC38D36
	buffer_load_dword v43, s[20:23], 0 offen lds               // 0000000053F0: E0511000 8005002B
	s_mul_i32 s56, s92, s64                                    // 0000000053F8: 9238405C
	v_lshl_add_u32 v45, v0, 2, s56                             // 0000000053FC: D1FD002D 00E10500
	s_add_u32 m0, 0xd00, s48                                   // 000000005404: 807C30FF 00000D00
	v_mfma_f32_16x16x32_fp8_fp8 v[244:247], a[48:49], a[208:209], 0// 00000000540C: D3F300F4 1A03A130
	v_mfma_f32_16x16x32_fp8_fp8 v[244:247], a[50:51], a[210:211], v[244:247]// 000000005414: D3F300F4 1FD3A532
	v_mfma_f32_16x16x32_fp8_fp8 v[244:247], a[52:53], a[212:213], v[244:247]// 00000000541C: D3F300F4 1FD3A934
	v_mfma_f32_16x16x32_fp8_fp8 v[244:247], a[54:55], a[214:215], v[244:247]// 000000005424: D3F300F4 1FD3AD36
	buffer_load_dword v44, s[20:23], 0 offen lds               // 00000000542C: E0511000 8005002C
	s_mul_i32 s56, s93, s64                                    // 000000005434: 9238405D
	v_lshl_add_u32 v46, v0, 2, s56                             // 000000005438: D1FD002E 00E10500
	s_add_u32 m0, 0xe00, s48                                   // 000000005440: 807C30FF 00000E00
	v_mfma_f32_16x16x32_fp8_fp8 v[248:251], a[48:49], a[224:225], 0// 000000005448: D3F300F8 1A03C130
	v_mfma_f32_16x16x32_fp8_fp8 v[248:251], a[50:51], a[226:227], v[248:251]// 000000005450: D3F300F8 1FE3C532
	buffer_load_dwordx4 a[116:119], v50, s[96:99], 0 offen offset:1024// 000000005458: E05C1400 80987432
	v_mfma_f32_16x16x32_fp8_fp8 v[248:251], a[52:53], a[228:229], v[248:251]// 000000005460: D3F300F8 1FE3C934
	v_mfma_f32_16x16x32_fp8_fp8 v[248:251], a[54:55], a[230:231], v[248:251]// 000000005468: D3F300F8 1FE3CD36
	buffer_load_dword v45, s[20:23], 0 offen lds               // 000000005470: E0511000 8005002D
	s_mul_i32 s56, s78, s64                                    // 000000005478: 9238404E
	v_lshl_add_u32 v43, v0, 2, s56                             // 00000000547C: D1FD002B 00E10500
	s_add_u32 m0, 0xf00, s48                                   // 000000005484: 807C30FF 00000F00
	v_mfma_f32_16x16x32_fp8_fp8 v[252:255], a[48:49], a[240:241], 0// 00000000548C: D3F300FC 1A03E130
	v_mfma_f32_16x16x32_fp8_fp8 v[252:255], a[50:51], a[242:243], v[252:255]// 000000005494: D3F300FC 1FF3E532
	v_mfma_f32_16x16x32_fp8_fp8 v[252:255], a[52:53], a[244:245], v[252:255]// 00000000549C: D3F300FC 1FF3E934
	v_mfma_f32_16x16x32_fp8_fp8 v[252:255], a[54:55], a[246:247], v[252:255]// 0000000054A4: D3F300FC 1FF3ED36
	buffer_load_dword v46, s[20:23], 0 offen lds               // 0000000054AC: E0511000 8005002E
	s_mul_i32 s56, s79, s64                                    // 0000000054B4: 9238404F
	v_lshl_add_u32 v44, v0, 2, s56                             // 0000000054B8: D1FD002C 00E10500
	s_add_u32 m0, s48, s72                                     // 0000000054C0: 807C4830
	buffer_load_dword v9, s[28:31], 0 offen lds                // 0000000054C4: E0511000 80070009
	s_add_u32 m0, m0, 0x400                                    // 0000000054CC: 807CFF7C 00000400
	buffer_load_dword v11, s[28:31], 0 offen lds               // 0000000054D4: E0511000 8007000B
	s_add_u32 m0, 0, s49                                       // 0000000054DC: 807C3180
	buffer_load_dword v38, v19, s[32:35], 0 offen              // 0000000054E0: E0501000 80082613
	v_mul_f32_dpp v60, v37, v29 row_newbcast:0 row_mask:0xf bank_mask:0xf// 0000000054E8: 0A783AFA FF015025
	v_mov_b32_e32 v61, v60                                     // 0000000054F0: 7E7A033C
	v_pk_fma_f32 v[64:65], v[192:193], v[60:61], v[64:65]      // 0000000054F4: D3B04040 1D0279C0
	v_pk_fma_f32 v[66:67], v[194:195], v[60:61], v[66:67]      // 0000000054FC: D3B04042 1D0A79C2
	v_pk_fma_f32 v[80:81], v[208:209], v[60:61], v[80:81]      // 000000005504: D3B04050 1D4279D0
	v_pk_fma_f32 v[82:83], v[210:211], v[60:61], v[82:83]      // 00000000550C: D3B04052 1D4A79D2
	v_mul_f32_dpp v60, v37, v29 row_newbcast:1 row_mask:0xf bank_mask:0xf// 000000005514: 0A783AFA FF015125
	v_mov_b32_e32 v61, v60                                     // 00000000551C: 7E7A033C
	v_pk_fma_f32 v[96:97], v[224:225], v[60:61], v[96:97]      // 000000005520: D3B04060 1D8279E0
	v_pk_fma_f32 v[98:99], v[226:227], v[60:61], v[98:99]      // 000000005528: D3B04062 1D8A79E2
	v_pk_fma_f32 v[112:113], v[240:241], v[60:61], v[112:113]  // 000000005530: D3B04070 1DC279F0
	v_pk_fma_f32 v[114:115], v[242:243], v[60:61], v[114:115]  // 000000005538: D3B04072 1DCA79F2
	v_mul_f32_dpp v60, v37, v30 row_newbcast:0 row_mask:0xf bank_mask:0xf// 000000005540: 0A783CFA FF015025
	v_mov_b32_e32 v61, v60                                     // 000000005548: 7E7A033C
	v_pk_fma_f32 v[68:69], v[196:197], v[60:61], v[68:69]      // 00000000554C: D3B04044 1D1279C4
	v_pk_fma_f32 v[70:71], v[198:199], v[60:61], v[70:71]      // 000000005554: D3B04046 1D1A79C6
	v_pk_fma_f32 v[84:85], v[212:213], v[60:61], v[84:85]      // 00000000555C: D3B04054 1D5279D4
	v_pk_fma_f32 v[86:87], v[214:215], v[60:61], v[86:87]      // 000000005564: D3B04056 1D5A79D6
	v_mul_f32_dpp v60, v37, v30 row_newbcast:1 row_mask:0xf bank_mask:0xf// 00000000556C: 0A783CFA FF015125
	v_mov_b32_e32 v61, v60                                     // 000000005574: 7E7A033C
	v_pk_fma_f32 v[100:101], v[228:229], v[60:61], v[100:101]  // 000000005578: D3B04064 1D9279E4
	v_pk_fma_f32 v[102:103], v[230:231], v[60:61], v[102:103]  // 000000005580: D3B04066 1D9A79E6
	v_pk_fma_f32 v[116:117], v[244:245], v[60:61], v[116:117]  // 000000005588: D3B04074 1DD279F4
	v_pk_fma_f32 v[118:119], v[246:247], v[60:61], v[118:119]  // 000000005590: D3B04076 1DDA79F6
	v_mul_f32_dpp v60, v37, v31 row_newbcast:0 row_mask:0xf bank_mask:0xf// 000000005598: 0A783EFA FF015025
	v_mov_b32_e32 v61, v60                                     // 0000000055A0: 7E7A033C
	v_pk_fma_f32 v[72:73], v[200:201], v[60:61], v[72:73]      // 0000000055A4: D3B04048 1D2279C8
	v_pk_fma_f32 v[74:75], v[202:203], v[60:61], v[74:75]      // 0000000055AC: D3B0404A 1D2A79CA
	v_pk_fma_f32 v[88:89], v[216:217], v[60:61], v[88:89]      // 0000000055B4: D3B04058 1D6279D8
	v_pk_fma_f32 v[90:91], v[218:219], v[60:61], v[90:91]      // 0000000055BC: D3B0405A 1D6A79DA
	v_mul_f32_dpp v60, v37, v31 row_newbcast:1 row_mask:0xf bank_mask:0xf// 0000000055C4: 0A783EFA FF015125
	v_mov_b32_e32 v61, v60                                     // 0000000055CC: 7E7A033C
	v_pk_fma_f32 v[104:105], v[232:233], v[60:61], v[104:105]  // 0000000055D0: D3B04068 1DA279E8
	v_pk_fma_f32 v[106:107], v[234:235], v[60:61], v[106:107]  // 0000000055D8: D3B0406A 1DAA79EA
	v_pk_fma_f32 v[120:121], v[248:249], v[60:61], v[120:121]  // 0000000055E0: D3B04078 1DE279F8
	v_pk_fma_f32 v[122:123], v[250:251], v[60:61], v[122:123]  // 0000000055E8: D3B0407A 1DEA79FA
	v_mul_f32_dpp v60, v37, v32 row_newbcast:0 row_mask:0xf bank_mask:0xf// 0000000055F0: 0A7840FA FF015025
	v_mov_b32_e32 v61, v60                                     // 0000000055F8: 7E7A033C
	v_pk_fma_f32 v[76:77], v[204:205], v[60:61], v[76:77]      // 0000000055FC: D3B0404C 1D3279CC
	v_pk_fma_f32 v[78:79], v[206:207], v[60:61], v[78:79]      // 000000005604: D3B0404E 1D3A79CE
	v_pk_fma_f32 v[92:93], v[220:221], v[60:61], v[92:93]      // 00000000560C: D3B0405C 1D7279DC
	v_pk_fma_f32 v[94:95], v[222:223], v[60:61], v[94:95]      // 000000005614: D3B0405E 1D7A79DE
	v_mul_f32_dpp v60, v37, v32 row_newbcast:1 row_mask:0xf bank_mask:0xf// 00000000561C: 0A7840FA FF015125
	v_mov_b32_e32 v61, v60                                     // 000000005624: 7E7A033C
	v_pk_fma_f32 v[108:109], v[236:237], v[60:61], v[108:109]  // 000000005628: D3B0406C 1DB279EC
	v_pk_fma_f32 v[110:111], v[238:239], v[60:61], v[110:111]  // 000000005630: D3B0406E 1DBA79EE
	v_pk_fma_f32 v[124:125], v[252:253], v[60:61], v[124:125]  // 000000005638: D3B0407C 1DF279FC
	v_pk_fma_f32 v[126:127], v[254:255], v[60:61], v[126:127]  // 000000005640: D3B0407E 1DFA79FE
	s_waitcnt vmcnt(31)                                        // 000000005648: BF8C4F7F
	v_mfma_f32_16x16x32_fp8_fp8 v[192:195], a[8:9], a[200:201], 0// 00000000564C: D3F300C0 1A039108
	v_mfma_f32_16x16x32_fp8_fp8 v[192:195], a[10:11], a[202:203], v[192:195]// 000000005654: D3F300C0 1F03950A
	buffer_load_dwordx4 a[72:75], v47, s[96:99], 0 offen offset:2048// 00000000565C: E05C1800 8098482F
	v_mfma_f32_16x16x32_fp8_fp8 v[192:195], a[12:13], a[204:205], v[192:195]// 000000005664: D3F300C0 1F03990C
	v_mfma_f32_16x16x32_fp8_fp8 v[192:195], a[14:15], a[206:207], v[192:195]// 00000000566C: D3F300C0 1F039D0E
	v_mfma_f32_16x16x32_fp8_fp8 v[196:199], a[8:9], a[216:217], 0// 000000005674: D3F300C4 1A03B108
	v_mfma_f32_16x16x32_fp8_fp8 v[196:199], a[10:11], a[218:219], v[196:199]// 00000000567C: D3F300C4 1F13B50A
	v_mfma_f32_16x16x32_fp8_fp8 v[196:199], a[12:13], a[220:221], v[196:199]// 000000005684: D3F300C4 1F13B90C
	v_mfma_f32_16x16x32_fp8_fp8 v[196:199], a[14:15], a[222:223], v[196:199]// 00000000568C: D3F300C4 1F13BD0E
	v_mfma_f32_16x16x32_fp8_fp8 v[200:203], a[8:9], a[232:233], 0// 000000005694: D3F300C8 1A03D108
	v_mfma_f32_16x16x32_fp8_fp8 v[200:203], a[10:11], a[234:235], v[200:203]// 00000000569C: D3F300C8 1F23D50A
	buffer_load_dwordx4 a[76:79], v47, s[96:99], 0 offen offset:3072// 0000000056A4: E05C1C00 80984C2F
	v_mfma_f32_16x16x32_fp8_fp8 v[200:203], a[12:13], a[236:237], v[200:203]// 0000000056AC: D3F300C8 1F23D90C
	v_mfma_f32_16x16x32_fp8_fp8 v[200:203], a[14:15], a[238:239], v[200:203]// 0000000056B4: D3F300C8 1F23DD0E
	v_mfma_f32_16x16x32_fp8_fp8 v[204:207], a[8:9], a[248:249], 0// 0000000056BC: D3F300CC 1A03F108
	v_mfma_f32_16x16x32_fp8_fp8 v[204:207], a[10:11], a[250:251], v[204:207]// 0000000056C4: D3F300CC 1F33F50A
	v_mfma_f32_16x16x32_fp8_fp8 v[204:207], a[12:13], a[252:253], v[204:207]// 0000000056CC: D3F300CC 1F33F90C
	v_mfma_f32_16x16x32_fp8_fp8 v[204:207], a[14:15], a[254:255], v[204:207]// 0000000056D4: D3F300CC 1F33FD0E
	s_waitcnt vmcnt(31)                                        // 0000000056DC: BF8C4F7F
	v_mfma_f32_16x16x32_fp8_fp8 v[208:211], a[24:25], a[200:201], 0// 0000000056E0: D3F300D0 1A039118
	v_mfma_f32_16x16x32_fp8_fp8 v[208:211], a[26:27], a[202:203], v[208:211]// 0000000056E8: D3F300D0 1F43951A
	buffer_load_dwordx4 a[88:91], v48, s[96:99], 0 offen offset:2048// 0000000056F0: E05C1800 80985830
	v_mfma_f32_16x16x32_fp8_fp8 v[208:211], a[28:29], a[204:205], v[208:211]// 0000000056F8: D3F300D0 1F43991C
	v_mfma_f32_16x16x32_fp8_fp8 v[208:211], a[30:31], a[206:207], v[208:211]// 000000005700: D3F300D0 1F439D1E
	v_mfma_f32_16x16x32_fp8_fp8 v[212:215], a[24:25], a[216:217], 0// 000000005708: D3F300D4 1A03B118
	v_mfma_f32_16x16x32_fp8_fp8 v[212:215], a[26:27], a[218:219], v[212:215]// 000000005710: D3F300D4 1F53B51A
	v_mfma_f32_16x16x32_fp8_fp8 v[212:215], a[28:29], a[220:221], v[212:215]// 000000005718: D3F300D4 1F53B91C
	v_mfma_f32_16x16x32_fp8_fp8 v[212:215], a[30:31], a[222:223], v[212:215]// 000000005720: D3F300D4 1F53BD1E
	v_mfma_f32_16x16x32_fp8_fp8 v[216:219], a[24:25], a[232:233], 0// 000000005728: D3F300D8 1A03D118
	v_mfma_f32_16x16x32_fp8_fp8 v[216:219], a[26:27], a[234:235], v[216:219]// 000000005730: D3F300D8 1F63D51A
	buffer_load_dwordx4 a[92:95], v48, s[96:99], 0 offen offset:3072// 000000005738: E05C1C00 80985C30
	v_mfma_f32_16x16x32_fp8_fp8 v[216:219], a[28:29], a[236:237], v[216:219]// 000000005740: D3F300D8 1F63D91C
	v_mfma_f32_16x16x32_fp8_fp8 v[216:219], a[30:31], a[238:239], v[216:219]// 000000005748: D3F300D8 1F63DD1E
	v_mfma_f32_16x16x32_fp8_fp8 v[220:223], a[24:25], a[248:249], 0// 000000005750: D3F300DC 1A03F118
	v_mfma_f32_16x16x32_fp8_fp8 v[220:223], a[26:27], a[250:251], v[220:223]// 000000005758: D3F300DC 1F73F51A
	v_mfma_f32_16x16x32_fp8_fp8 v[220:223], a[28:29], a[252:253], v[220:223]// 000000005760: D3F300DC 1F73F91C
	v_mfma_f32_16x16x32_fp8_fp8 v[220:223], a[30:31], a[254:255], v[220:223]// 000000005768: D3F300DC 1F73FD1E
	s_waitcnt vmcnt(31)                                        // 000000005770: BF8C4F7F
	v_mfma_f32_16x16x32_fp8_fp8 v[224:227], a[40:41], a[200:201], 0// 000000005774: D3F300E0 1A039128
	v_mfma_f32_16x16x32_fp8_fp8 v[224:227], a[42:43], a[202:203], v[224:227]// 00000000577C: D3F300E0 1F83952A
	buffer_load_dwordx4 a[104:107], v49, s[96:99], 0 offen offset:2048// 000000005784: E05C1800 80986831
	v_mfma_f32_16x16x32_fp8_fp8 v[224:227], a[44:45], a[204:205], v[224:227]// 00000000578C: D3F300E0 1F83992C
	v_mfma_f32_16x16x32_fp8_fp8 v[224:227], a[46:47], a[206:207], v[224:227]// 000000005794: D3F300E0 1F839D2E
	v_mfma_f32_16x16x32_fp8_fp8 v[228:231], a[40:41], a[216:217], 0// 00000000579C: D3F300E4 1A03B128
	v_mfma_f32_16x16x32_fp8_fp8 v[228:231], a[42:43], a[218:219], v[228:231]// 0000000057A4: D3F300E4 1F93B52A
	v_mfma_f32_16x16x32_fp8_fp8 v[228:231], a[44:45], a[220:221], v[228:231]// 0000000057AC: D3F300E4 1F93B92C
	v_mfma_f32_16x16x32_fp8_fp8 v[228:231], a[46:47], a[222:223], v[228:231]// 0000000057B4: D3F300E4 1F93BD2E
	v_mfma_f32_16x16x32_fp8_fp8 v[232:235], a[40:41], a[232:233], 0// 0000000057BC: D3F300E8 1A03D128
	v_mfma_f32_16x16x32_fp8_fp8 v[232:235], a[42:43], a[234:235], v[232:235]// 0000000057C4: D3F300E8 1FA3D52A
	buffer_load_dwordx4 a[108:111], v49, s[96:99], 0 offen offset:3072// 0000000057CC: E05C1C00 80986C31
	v_mfma_f32_16x16x32_fp8_fp8 v[232:235], a[44:45], a[236:237], v[232:235]// 0000000057D4: D3F300E8 1FA3D92C
	v_mfma_f32_16x16x32_fp8_fp8 v[232:235], a[46:47], a[238:239], v[232:235]// 0000000057DC: D3F300E8 1FA3DD2E
	v_mfma_f32_16x16x32_fp8_fp8 v[236:239], a[40:41], a[248:249], 0// 0000000057E4: D3F300EC 1A03F128
	v_mfma_f32_16x16x32_fp8_fp8 v[236:239], a[42:43], a[250:251], v[236:239]// 0000000057EC: D3F300EC 1FB3F52A
	v_mfma_f32_16x16x32_fp8_fp8 v[236:239], a[44:45], a[252:253], v[236:239]// 0000000057F4: D3F300EC 1FB3F92C
	v_mfma_f32_16x16x32_fp8_fp8 v[236:239], a[46:47], a[254:255], v[236:239]// 0000000057FC: D3F300EC 1FB3FD2E
	s_waitcnt vmcnt(31)                                        // 000000005804: BF8C4F7F
	v_mfma_f32_16x16x32_fp8_fp8 v[240:243], a[56:57], a[200:201], 0// 000000005808: D3F300F0 1A039138
	v_mfma_f32_16x16x32_fp8_fp8 v[240:243], a[58:59], a[202:203], v[240:243]// 000000005810: D3F300F0 1FC3953A
	buffer_load_dwordx4 a[120:123], v50, s[96:99], 0 offen offset:2048// 000000005818: E05C1800 80987832
	v_mfma_f32_16x16x32_fp8_fp8 v[240:243], a[60:61], a[204:205], v[240:243]// 000000005820: D3F300F0 1FC3993C
	v_mfma_f32_16x16x32_fp8_fp8 v[240:243], a[62:63], a[206:207], v[240:243]// 000000005828: D3F300F0 1FC39D3E
	v_mfma_f32_16x16x32_fp8_fp8 v[244:247], a[56:57], a[216:217], 0// 000000005830: D3F300F4 1A03B138
	v_mfma_f32_16x16x32_fp8_fp8 v[244:247], a[58:59], a[218:219], v[244:247]// 000000005838: D3F300F4 1FD3B53A
	v_mfma_f32_16x16x32_fp8_fp8 v[244:247], a[60:61], a[220:221], v[244:247]// 000000005840: D3F300F4 1FD3B93C
	v_mfma_f32_16x16x32_fp8_fp8 v[244:247], a[62:63], a[222:223], v[244:247]// 000000005848: D3F300F4 1FD3BD3E
	v_mfma_f32_16x16x32_fp8_fp8 v[248:251], a[56:57], a[232:233], 0// 000000005850: D3F300F8 1A03D138
	v_mfma_f32_16x16x32_fp8_fp8 v[248:251], a[58:59], a[234:235], v[248:251]// 000000005858: D3F300F8 1FE3D53A
	buffer_load_dwordx4 a[124:127], v50, s[96:99], 0 offen offset:3072// 000000005860: E05C1C00 80987C32
	v_mfma_f32_16x16x32_fp8_fp8 v[248:251], a[60:61], a[236:237], v[248:251]// 000000005868: D3F300F8 1FE3D93C
	v_mfma_f32_16x16x32_fp8_fp8 v[248:251], a[62:63], a[238:239], v[248:251]// 000000005870: D3F300F8 1FE3DD3E
	v_mfma_f32_16x16x32_fp8_fp8 v[252:255], a[56:57], a[248:249], 0// 000000005878: D3F300FC 1A03F138
	v_mfma_f32_16x16x32_fp8_fp8 v[252:255], a[58:59], a[250:251], v[252:255]// 000000005880: D3F300FC 1FF3F53A
	v_mfma_f32_16x16x32_fp8_fp8 v[252:255], a[60:61], a[252:253], v[252:255]// 000000005888: D3F300FC 1FF3F93C
	v_mfma_f32_16x16x32_fp8_fp8 v[252:255], a[62:63], a[254:255], v[252:255]// 000000005890: D3F300FC 1FF3FD3E
	v_mul_f32_dpp v60, v37, v33 row_newbcast:2 row_mask:0xf bank_mask:0xf// 000000005898: 0A7842FA FF015225
	v_mov_b32_e32 v61, v60                                     // 0000000058A0: 7E7A033C
	v_pk_fma_f32 v[64:65], v[192:193], v[60:61], v[64:65]      // 0000000058A4: D3B04040 1D0279C0
	v_pk_fma_f32 v[66:67], v[194:195], v[60:61], v[66:67]      // 0000000058AC: D3B04042 1D0A79C2
	v_pk_fma_f32 v[80:81], v[208:209], v[60:61], v[80:81]      // 0000000058B4: D3B04050 1D4279D0
	v_pk_fma_f32 v[82:83], v[210:211], v[60:61], v[82:83]      // 0000000058BC: D3B04052 1D4A79D2
	v_mul_f32_dpp v60, v37, v33 row_newbcast:3 row_mask:0xf bank_mask:0xf// 0000000058C4: 0A7842FA FF015325
	v_mov_b32_e32 v61, v60                                     // 0000000058CC: 7E7A033C
	v_pk_fma_f32 v[96:97], v[224:225], v[60:61], v[96:97]      // 0000000058D0: D3B04060 1D8279E0
	v_pk_fma_f32 v[98:99], v[226:227], v[60:61], v[98:99]      // 0000000058D8: D3B04062 1D8A79E2
	v_pk_fma_f32 v[112:113], v[240:241], v[60:61], v[112:113]  // 0000000058E0: D3B04070 1DC279F0
	v_pk_fma_f32 v[114:115], v[242:243], v[60:61], v[114:115]  // 0000000058E8: D3B04072 1DCA79F2
	v_mul_f32_dpp v60, v37, v34 row_newbcast:2 row_mask:0xf bank_mask:0xf// 0000000058F0: 0A7844FA FF015225
	v_mov_b32_e32 v61, v60                                     // 0000000058F8: 7E7A033C
	v_pk_fma_f32 v[68:69], v[196:197], v[60:61], v[68:69]      // 0000000058FC: D3B04044 1D1279C4
	v_pk_fma_f32 v[70:71], v[198:199], v[60:61], v[70:71]      // 000000005904: D3B04046 1D1A79C6
	v_pk_fma_f32 v[84:85], v[212:213], v[60:61], v[84:85]      // 00000000590C: D3B04054 1D5279D4
	v_pk_fma_f32 v[86:87], v[214:215], v[60:61], v[86:87]      // 000000005914: D3B04056 1D5A79D6
	v_mul_f32_dpp v60, v37, v34 row_newbcast:3 row_mask:0xf bank_mask:0xf// 00000000591C: 0A7844FA FF015325
	v_mov_b32_e32 v61, v60                                     // 000000005924: 7E7A033C
	v_pk_fma_f32 v[100:101], v[228:229], v[60:61], v[100:101]  // 000000005928: D3B04064 1D9279E4
	v_pk_fma_f32 v[102:103], v[230:231], v[60:61], v[102:103]  // 000000005930: D3B04066 1D9A79E6
	v_pk_fma_f32 v[116:117], v[244:245], v[60:61], v[116:117]  // 000000005938: D3B04074 1DD279F4
	v_pk_fma_f32 v[118:119], v[246:247], v[60:61], v[118:119]  // 000000005940: D3B04076 1DDA79F6
	v_mul_f32_dpp v60, v37, v35 row_newbcast:2 row_mask:0xf bank_mask:0xf// 000000005948: 0A7846FA FF015225
	v_mov_b32_e32 v61, v60                                     // 000000005950: 7E7A033C
	v_pk_fma_f32 v[72:73], v[200:201], v[60:61], v[72:73]      // 000000005954: D3B04048 1D2279C8
	v_pk_fma_f32 v[74:75], v[202:203], v[60:61], v[74:75]      // 00000000595C: D3B0404A 1D2A79CA
	v_pk_fma_f32 v[88:89], v[216:217], v[60:61], v[88:89]      // 000000005964: D3B04058 1D6279D8
	v_pk_fma_f32 v[90:91], v[218:219], v[60:61], v[90:91]      // 00000000596C: D3B0405A 1D6A79DA
	v_mul_f32_dpp v60, v37, v35 row_newbcast:3 row_mask:0xf bank_mask:0xf// 000000005974: 0A7846FA FF015325
	v_mov_b32_e32 v61, v60                                     // 00000000597C: 7E7A033C
	v_pk_fma_f32 v[104:105], v[232:233], v[60:61], v[104:105]  // 000000005980: D3B04068 1DA279E8
	v_pk_fma_f32 v[106:107], v[234:235], v[60:61], v[106:107]  // 000000005988: D3B0406A 1DAA79EA
	v_pk_fma_f32 v[120:121], v[248:249], v[60:61], v[120:121]  // 000000005990: D3B04078 1DE279F8
	v_pk_fma_f32 v[122:123], v[250:251], v[60:61], v[122:123]  // 000000005998: D3B0407A 1DEA79FA
	v_mul_f32_dpp v60, v37, v36 row_newbcast:2 row_mask:0xf bank_mask:0xf// 0000000059A0: 0A7848FA FF015225
	v_mov_b32_e32 v61, v60                                     // 0000000059A8: 7E7A033C
	v_pk_fma_f32 v[76:77], v[204:205], v[60:61], v[76:77]      // 0000000059AC: D3B0404C 1D3279CC
	v_pk_fma_f32 v[78:79], v[206:207], v[60:61], v[78:79]      // 0000000059B4: D3B0404E 1D3A79CE
	v_pk_fma_f32 v[92:93], v[220:221], v[60:61], v[92:93]      // 0000000059BC: D3B0405C 1D7279DC
	v_pk_fma_f32 v[94:95], v[222:223], v[60:61], v[94:95]      // 0000000059C4: D3B0405E 1D7A79DE
	v_mul_f32_dpp v60, v37, v36 row_newbcast:3 row_mask:0xf bank_mask:0xf// 0000000059CC: 0A7848FA FF015325
	v_mov_b32_e32 v61, v60                                     // 0000000059D4: 7E7A033C
	v_pk_fma_f32 v[108:109], v[236:237], v[60:61], v[108:109]  // 0000000059D8: D3B0406C 1DB279EC
	v_pk_fma_f32 v[110:111], v[238:239], v[60:61], v[110:111]  // 0000000059E0: D3B0406E 1DBA79EE
	v_pk_fma_f32 v[124:125], v[252:253], v[60:61], v[124:125]  // 0000000059E8: D3B0407C 1DF279FC
	v_pk_fma_f32 v[126:127], v[254:255], v[60:61], v[126:127]  // 0000000059F0: D3B0407E 1DFA79FE
	s_add_u32 s56, 0x100, s76                                  // 0000000059F8: 80384CFF 00000100
	s_cmp_lt_u32 s56, s77                                      // 000000005A00: BF0A4D38
	s_cselect_b32 s4, s4, 0                                    // 000000005A04: 85048004
	s_add_u32 s32, s4, s32                                     // 000000005A08: 80202004
	s_addc_u32 s33, 0, s33                                     // 000000005A0C: 82212180
	s_waitcnt vmcnt(8)                                         // 000000005A10: BF8C0F78
	s_barrier                                                  // 000000005A14: BF8A0000
	v_mfma_f32_16x16x32_fp8_fp8 v[192:195], a[64:65], a[192:193], 0// 000000005A18: D3F300C0 1A038140
	v_mfma_f32_16x16x32_fp8_fp8 v[192:195], a[66:67], a[194:195], v[192:195]// 000000005A20: D3F300C0 1F038542
	buffer_load_dwordx4 a[0:3], v47, s[24:27], 0 offen         // 000000005A28: E05C1000 8086002F
	v_mfma_f32_16x16x32_fp8_fp8 v[192:195], a[68:69], a[196:197], v[192:195]// 000000005A30: D3F300C0 1F038944
	v_mfma_f32_16x16x32_fp8_fp8 v[192:195], a[70:71], a[198:199], v[192:195]// 000000005A38: D3F300C0 1F038D46
	buffer_load_dword v37, v17, s[32:35], 0 offen              // 000000005A40: E0501000 80082511
	v_mfma_f32_16x16x32_fp8_fp8 v[196:199], a[64:65], a[208:209], 0// 000000005A48: D3F300C4 1A03A140
	v_mfma_f32_16x16x32_fp8_fp8 v[196:199], a[66:67], a[210:211], v[196:199]// 000000005A50: D3F300C4 1F13A542
	v_mfma_f32_16x16x32_fp8_fp8 v[196:199], a[68:69], a[212:213], v[196:199]// 000000005A58: D3F300C4 1F13A944
	v_mfma_f32_16x16x32_fp8_fp8 v[196:199], a[70:71], a[214:215], v[196:199]// 000000005A60: D3F300C4 1F13AD46
	v_mfma_f32_16x16x32_fp8_fp8 v[200:203], a[64:65], a[224:225], 0// 000000005A68: D3F300C8 1A03C140
	v_mfma_f32_16x16x32_fp8_fp8 v[200:203], a[66:67], a[226:227], v[200:203]// 000000005A70: D3F300C8 1F23C542
	buffer_load_dwordx4 a[4:7], v47, s[24:27], 0 offen offset:1024// 000000005A78: E05C1400 8086042F
	v_mfma_f32_16x16x32_fp8_fp8 v[200:203], a[68:69], a[228:229], v[200:203]// 000000005A80: D3F300C8 1F23C944
	v_mfma_f32_16x16x32_fp8_fp8 v[200:203], a[70:71], a[230:231], v[200:203]// 000000005A88: D3F300C8 1F23CD46
	v_mfma_f32_16x16x32_fp8_fp8 v[204:207], a[64:65], a[240:241], 0// 000000005A90: D3F300CC 1A03E140
	v_mfma_f32_16x16x32_fp8_fp8 v[204:207], a[66:67], a[242:243], v[204:207]// 000000005A98: D3F300CC 1F33E542
	v_mfma_f32_16x16x32_fp8_fp8 v[204:207], a[68:69], a[244:245], v[204:207]// 000000005AA0: D3F300CC 1F33E944
	v_mfma_f32_16x16x32_fp8_fp8 v[204:207], a[70:71], a[246:247], v[204:207]// 000000005AA8: D3F300CC 1F33ED46
	v_mfma_f32_16x16x32_fp8_fp8 v[208:211], a[80:81], a[192:193], 0// 000000005AB0: D3F300D0 1A038150
	v_mfma_f32_16x16x32_fp8_fp8 v[208:211], a[82:83], a[194:195], v[208:211]// 000000005AB8: D3F300D0 1F438552
	buffer_load_dwordx4 a[16:19], v48, s[24:27], 0 offen       // 000000005AC0: E05C1000 80861030
	v_mfma_f32_16x16x32_fp8_fp8 v[208:211], a[84:85], a[196:197], v[208:211]// 000000005AC8: D3F300D0 1F438954
	v_mfma_f32_16x16x32_fp8_fp8 v[208:211], a[86:87], a[198:199], v[208:211]// 000000005AD0: D3F300D0 1F438D56
	v_mfma_f32_16x16x32_fp8_fp8 v[212:215], a[80:81], a[208:209], 0// 000000005AD8: D3F300D4 1A03A150
	v_mfma_f32_16x16x32_fp8_fp8 v[212:215], a[82:83], a[210:211], v[212:215]// 000000005AE0: D3F300D4 1F53A552
	v_mfma_f32_16x16x32_fp8_fp8 v[212:215], a[84:85], a[212:213], v[212:215]// 000000005AE8: D3F300D4 1F53A954
	v_mfma_f32_16x16x32_fp8_fp8 v[212:215], a[86:87], a[214:215], v[212:215]// 000000005AF0: D3F300D4 1F53AD56
	v_mfma_f32_16x16x32_fp8_fp8 v[216:219], a[80:81], a[224:225], 0// 000000005AF8: D3F300D8 1A03C150
	v_mfma_f32_16x16x32_fp8_fp8 v[216:219], a[82:83], a[226:227], v[216:219]// 000000005B00: D3F300D8 1F63C552
	buffer_load_dwordx4 a[20:23], v48, s[24:27], 0 offen offset:1024// 000000005B08: E05C1400 80861430
	v_mfma_f32_16x16x32_fp8_fp8 v[216:219], a[84:85], a[228:229], v[216:219]// 000000005B10: D3F300D8 1F63C954
	v_mfma_f32_16x16x32_fp8_fp8 v[216:219], a[86:87], a[230:231], v[216:219]// 000000005B18: D3F300D8 1F63CD56
	v_mfma_f32_16x16x32_fp8_fp8 v[220:223], a[80:81], a[240:241], 0// 000000005B20: D3F300DC 1A03E150
	v_mfma_f32_16x16x32_fp8_fp8 v[220:223], a[82:83], a[242:243], v[220:223]// 000000005B28: D3F300DC 1F73E552
	v_mfma_f32_16x16x32_fp8_fp8 v[220:223], a[84:85], a[244:245], v[220:223]// 000000005B30: D3F300DC 1F73E954
	v_mfma_f32_16x16x32_fp8_fp8 v[220:223], a[86:87], a[246:247], v[220:223]// 000000005B38: D3F300DC 1F73ED56
	s_waitcnt vmcnt(13)                                        // 000000005B40: BF8C0F7D
	v_mfma_f32_16x16x32_fp8_fp8 v[224:227], a[96:97], a[192:193], 0// 000000005B44: D3F300E0 1A038160
	v_mfma_f32_16x16x32_fp8_fp8 v[224:227], a[98:99], a[194:195], v[224:227]// 000000005B4C: D3F300E0 1F838562
	buffer_load_dwordx4 a[32:35], v49, s[24:27], 0 offen       // 000000005B54: E05C1000 80862031
	v_mfma_f32_16x16x32_fp8_fp8 v[224:227], a[100:101], a[196:197], v[224:227]// 000000005B5C: D3F300E0 1F838964
	v_mfma_f32_16x16x32_fp8_fp8 v[224:227], a[102:103], a[198:199], v[224:227]// 000000005B64: D3F300E0 1F838D66
	ds_read_b128 a[128:131], v2                                // 000000005B6C: DBFE0000 80000002
	ds_read_b128 a[132:135], v2 offset:64                      // 000000005B74: DBFE0040 84000002
	ds_read_b32 v21, v3 offset:16512                           // 000000005B7C: D86C4080 15000003
	ds_read_b32 v22, v3 offset:16768                           // 000000005B84: D86C4180 16000003
	v_mfma_f32_16x16x32_fp8_fp8 v[228:231], a[96:97], a[208:209], 0// 000000005B8C: D3F300E4 1A03A160
	v_mfma_f32_16x16x32_fp8_fp8 v[228:231], a[98:99], a[210:211], v[228:231]// 000000005B94: D3F300E4 1F93A562
	v_mfma_f32_16x16x32_fp8_fp8 v[228:231], a[100:101], a[212:213], v[228:231]// 000000005B9C: D3F300E4 1F93A964
	v_mfma_f32_16x16x32_fp8_fp8 v[228:231], a[102:103], a[214:215], v[228:231]// 000000005BA4: D3F300E4 1F93AD66
	ds_read_b128 a[136:139], v2 offset:128                     // 000000005BAC: DBFE0080 88000002
	ds_read_b128 a[140:143], v2 offset:192                     // 000000005BB4: DBFE00C0 8C000002
	ds_read_b32 v23, v3 offset:17536                           // 000000005BBC: D86C4480 17000003
	ds_read_b32 v24, v3 offset:17792                           // 000000005BC4: D86C4580 18000003
	v_mfma_f32_16x16x32_fp8_fp8 v[232:235], a[96:97], a[224:225], 0// 000000005BCC: D3F300E8 1A03C160
	v_mfma_f32_16x16x32_fp8_fp8 v[232:235], a[98:99], a[226:227], v[232:235]// 000000005BD4: D3F300E8 1FA3C562
	buffer_load_dwordx4 a[36:39], v49, s[24:27], 0 offen offset:1024// 000000005BDC: E05C1400 80862431
	v_mfma_f32_16x16x32_fp8_fp8 v[232:235], a[100:101], a[228:229], v[232:235]// 000000005BE4: D3F300E8 1FA3C964
	v_mfma_f32_16x16x32_fp8_fp8 v[232:235], a[102:103], a[230:231], v[232:235]// 000000005BEC: D3F300E8 1FA3CD66
	ds_read_b128 a[144:147], v2 offset:1024                    // 000000005BF4: DBFE0400 90000002
	ds_read_b128 a[148:151], v2 offset:1088                    // 000000005BFC: DBFE0440 94000002
	ds_read_b32 v25, v3 offset:17024                           // 000000005C04: D86C4280 19000003
	ds_read_b32 v26, v3 offset:17280                           // 000000005C0C: D86C4380 1A000003
	v_mfma_f32_16x16x32_fp8_fp8 v[236:239], a[96:97], a[240:241], 0// 000000005C14: D3F300EC 1A03E160
	v_mfma_f32_16x16x32_fp8_fp8 v[236:239], a[98:99], a[242:243], v[236:239]// 000000005C1C: D3F300EC 1FB3E562
	v_mfma_f32_16x16x32_fp8_fp8 v[236:239], a[100:101], a[244:245], v[236:239]// 000000005C24: D3F300EC 1FB3E964
	v_mfma_f32_16x16x32_fp8_fp8 v[236:239], a[102:103], a[246:247], v[236:239]// 000000005C2C: D3F300EC 1FB3ED66
	ds_read_b128 a[152:155], v2 offset:1152                    // 000000005C34: DBFE0480 98000002
	ds_read_b128 a[156:159], v2 offset:1216                    // 000000005C3C: DBFE04C0 9C000002
	ds_read_b32 v27, v3 offset:18048                           // 000000005C44: D86C4680 1B000003
	ds_read_b32 v28, v3 offset:18304                           // 000000005C4C: D86C4780 1C000003
	s_waitcnt vmcnt(13)                                        // 000000005C54: BF8C0F7D
	v_mfma_f32_16x16x32_fp8_fp8 v[240:243], a[112:113], a[192:193], 0// 000000005C58: D3F300F0 1A038170
	v_mfma_f32_16x16x32_fp8_fp8 v[240:243], a[114:115], a[194:195], v[240:243]// 000000005C60: D3F300F0 1FC38572
	buffer_load_dwordx4 a[48:51], v50, s[24:27], 0 offen       // 000000005C68: E05C1000 80863032
	v_mfma_f32_16x16x32_fp8_fp8 v[240:243], a[116:117], a[196:197], v[240:243]// 000000005C70: D3F300F0 1FC38974
	v_mfma_f32_16x16x32_fp8_fp8 v[240:243], a[118:119], a[198:199], v[240:243]// 000000005C78: D3F300F0 1FC38D76
	ds_read_b128 a[160:163], v2 offset:2048                    // 000000005C80: DBFE0800 A0000002
	ds_read_b128 a[164:167], v2 offset:2112                    // 000000005C88: DBFE0840 A4000002
	v_mfma_f32_16x16x32_fp8_fp8 v[244:247], a[112:113], a[208:209], 0// 000000005C90: D3F300F4 1A03A170
	v_mfma_f32_16x16x32_fp8_fp8 v[244:247], a[114:115], a[210:211], v[244:247]// 000000005C98: D3F300F4 1FD3A572
	v_mfma_f32_16x16x32_fp8_fp8 v[244:247], a[116:117], a[212:213], v[244:247]// 000000005CA0: D3F300F4 1FD3A974
	v_mfma_f32_16x16x32_fp8_fp8 v[244:247], a[118:119], a[214:215], v[244:247]// 000000005CA8: D3F300F4 1FD3AD76
	ds_read_b128 a[168:171], v2 offset:2176                    // 000000005CB0: DBFE0880 A8000002
	ds_read_b128 a[172:175], v2 offset:2240                    // 000000005CB8: DBFE08C0 AC000002
	v_mfma_f32_16x16x32_fp8_fp8 v[248:251], a[112:113], a[224:225], 0// 000000005CC0: D3F300F8 1A03C170
	v_mfma_f32_16x16x32_fp8_fp8 v[248:251], a[114:115], a[226:227], v[248:251]// 000000005CC8: D3F300F8 1FE3C572
	buffer_load_dwordx4 a[52:55], v50, s[24:27], 0 offen offset:1024// 000000005CD0: E05C1400 80863432
	v_mfma_f32_16x16x32_fp8_fp8 v[248:251], a[116:117], a[228:229], v[248:251]// 000000005CD8: D3F300F8 1FE3C974
	v_mfma_f32_16x16x32_fp8_fp8 v[248:251], a[118:119], a[230:231], v[248:251]// 000000005CE0: D3F300F8 1FE3CD76
	ds_read_b128 a[176:179], v2 offset:3072                    // 000000005CE8: DBFE0C00 B0000002
	ds_read_b128 a[180:183], v2 offset:3136                    // 000000005CF0: DBFE0C40 B4000002
	v_mfma_f32_16x16x32_fp8_fp8 v[252:255], a[112:113], a[240:241], 0// 000000005CF8: D3F300FC 1A03E170
	v_mfma_f32_16x16x32_fp8_fp8 v[252:255], a[114:115], a[242:243], v[252:255]// 000000005D00: D3F300FC 1FF3E572
	v_mfma_f32_16x16x32_fp8_fp8 v[252:255], a[116:117], a[244:245], v[252:255]// 000000005D08: D3F300FC 1FF3E974
	v_mfma_f32_16x16x32_fp8_fp8 v[252:255], a[118:119], a[246:247], v[252:255]// 000000005D10: D3F300FC 1FF3ED76
	ds_read_b128 a[184:187], v2 offset:3200                    // 000000005D18: DBFE0C80 B8000002
	ds_read_b128 a[188:191], v2 offset:3264                    // 000000005D20: DBFE0CC0 BC000002
	v_mul_f32_dpp v60, v38, v29 row_newbcast:0 row_mask:0xf bank_mask:0xf// 000000005D28: 0A783AFA FF015026
	v_mov_b32_e32 v61, v60                                     // 000000005D30: 7E7A033C
	v_pk_fma_f32 v[128:129], v[192:193], v[60:61], v[128:129]  // 000000005D34: D3B04080 1E0279C0
	v_pk_fma_f32 v[130:131], v[194:195], v[60:61], v[130:131]  // 000000005D3C: D3B04082 1E0A79C2
	v_pk_fma_f32 v[144:145], v[208:209], v[60:61], v[144:145]  // 000000005D44: D3B04090 1E4279D0
	v_pk_fma_f32 v[146:147], v[210:211], v[60:61], v[146:147]  // 000000005D4C: D3B04092 1E4A79D2
	v_mul_f32_dpp v60, v38, v29 row_newbcast:1 row_mask:0xf bank_mask:0xf// 000000005D54: 0A783AFA FF015126
	v_mov_b32_e32 v61, v60                                     // 000000005D5C: 7E7A033C
	v_pk_fma_f32 v[160:161], v[224:225], v[60:61], v[160:161]  // 000000005D60: D3B040A0 1E8279E0
	v_pk_fma_f32 v[162:163], v[226:227], v[60:61], v[162:163]  // 000000005D68: D3B040A2 1E8A79E2
	v_pk_fma_f32 v[176:177], v[240:241], v[60:61], v[176:177]  // 000000005D70: D3B040B0 1EC279F0
	v_pk_fma_f32 v[178:179], v[242:243], v[60:61], v[178:179]  // 000000005D78: D3B040B2 1ECA79F2
	v_mul_f32_dpp v60, v38, v30 row_newbcast:0 row_mask:0xf bank_mask:0xf// 000000005D80: 0A783CFA FF015026
	v_mov_b32_e32 v61, v60                                     // 000000005D88: 7E7A033C
	v_pk_fma_f32 v[132:133], v[196:197], v[60:61], v[132:133]  // 000000005D8C: D3B04084 1E1279C4
	v_pk_fma_f32 v[134:135], v[198:199], v[60:61], v[134:135]  // 000000005D94: D3B04086 1E1A79C6
	v_pk_fma_f32 v[148:149], v[212:213], v[60:61], v[148:149]  // 000000005D9C: D3B04094 1E5279D4
	v_pk_fma_f32 v[150:151], v[214:215], v[60:61], v[150:151]  // 000000005DA4: D3B04096 1E5A79D6
	v_mul_f32_dpp v60, v38, v30 row_newbcast:1 row_mask:0xf bank_mask:0xf// 000000005DAC: 0A783CFA FF015126
	v_mov_b32_e32 v61, v60                                     // 000000005DB4: 7E7A033C
	v_pk_fma_f32 v[164:165], v[228:229], v[60:61], v[164:165]  // 000000005DB8: D3B040A4 1E9279E4
	v_pk_fma_f32 v[166:167], v[230:231], v[60:61], v[166:167]  // 000000005DC0: D3B040A6 1E9A79E6
	v_pk_fma_f32 v[180:181], v[244:245], v[60:61], v[180:181]  // 000000005DC8: D3B040B4 1ED279F4
	v_pk_fma_f32 v[182:183], v[246:247], v[60:61], v[182:183]  // 000000005DD0: D3B040B6 1EDA79F6
	v_mul_f32_dpp v60, v38, v31 row_newbcast:0 row_mask:0xf bank_mask:0xf// 000000005DD8: 0A783EFA FF015026
	v_mov_b32_e32 v61, v60                                     // 000000005DE0: 7E7A033C
	v_pk_fma_f32 v[136:137], v[200:201], v[60:61], v[136:137]  // 000000005DE4: D3B04088 1E2279C8
	v_pk_fma_f32 v[138:139], v[202:203], v[60:61], v[138:139]  // 000000005DEC: D3B0408A 1E2A79CA
	v_pk_fma_f32 v[152:153], v[216:217], v[60:61], v[152:153]  // 000000005DF4: D3B04098 1E6279D8
	v_pk_fma_f32 v[154:155], v[218:219], v[60:61], v[154:155]  // 000000005DFC: D3B0409A 1E6A79DA
	v_mul_f32_dpp v60, v38, v31 row_newbcast:1 row_mask:0xf bank_mask:0xf// 000000005E04: 0A783EFA FF015126
	v_mov_b32_e32 v61, v60                                     // 000000005E0C: 7E7A033C
	v_pk_fma_f32 v[168:169], v[232:233], v[60:61], v[168:169]  // 000000005E10: D3B040A8 1EA279E8
	v_pk_fma_f32 v[170:171], v[234:235], v[60:61], v[170:171]  // 000000005E18: D3B040AA 1EAA79EA
	v_pk_fma_f32 v[184:185], v[248:249], v[60:61], v[184:185]  // 000000005E20: D3B040B8 1EE279F8
	v_pk_fma_f32 v[186:187], v[250:251], v[60:61], v[186:187]  // 000000005E28: D3B040BA 1EEA79FA
	v_mul_f32_dpp v60, v38, v32 row_newbcast:0 row_mask:0xf bank_mask:0xf// 000000005E30: 0A7840FA FF015026
	v_mov_b32_e32 v61, v60                                     // 000000005E38: 7E7A033C
	v_pk_fma_f32 v[140:141], v[204:205], v[60:61], v[140:141]  // 000000005E3C: D3B0408C 1E3279CC
	v_pk_fma_f32 v[142:143], v[206:207], v[60:61], v[142:143]  // 000000005E44: D3B0408E 1E3A79CE
	v_pk_fma_f32 v[156:157], v[220:221], v[60:61], v[156:157]  // 000000005E4C: D3B0409C 1E7279DC
	v_pk_fma_f32 v[158:159], v[222:223], v[60:61], v[158:159]  // 000000005E54: D3B0409E 1E7A79DE
	v_mul_f32_dpp v60, v38, v32 row_newbcast:1 row_mask:0xf bank_mask:0xf// 000000005E5C: 0A7840FA FF015126
	v_mov_b32_e32 v61, v60                                     // 000000005E64: 7E7A033C
	v_pk_fma_f32 v[172:173], v[236:237], v[60:61], v[172:173]  // 000000005E68: D3B040AC 1EB279EC
	v_pk_fma_f32 v[174:175], v[238:239], v[60:61], v[174:175]  // 000000005E70: D3B040AE 1EBA79EE
	v_pk_fma_f32 v[188:189], v[252:253], v[60:61], v[188:189]  // 000000005E78: D3B040BC 1EF279FC
	v_pk_fma_f32 v[190:191], v[254:255], v[60:61], v[190:191]  // 000000005E80: D3B040BE 1EFA79FE
	s_waitcnt vmcnt(13)                                        // 000000005E88: BF8C0F7D
	v_mfma_f32_16x16x32_fp8_fp8 v[192:195], a[72:73], a[200:201], 0// 000000005E8C: D3F300C0 1A039148
	v_mfma_f32_16x16x32_fp8_fp8 v[192:195], a[74:75], a[202:203], v[192:195]// 000000005E94: D3F300C0 1F03954A
	buffer_load_dwordx4 a[8:11], v47, s[24:27], 0 offen offset:2048// 000000005E9C: E05C1800 8086082F
	v_mfma_f32_16x16x32_fp8_fp8 v[192:195], a[76:77], a[204:205], v[192:195]// 000000005EA4: D3F300C0 1F03994C
	v_mfma_f32_16x16x32_fp8_fp8 v[192:195], a[78:79], a[206:207], v[192:195]// 000000005EAC: D3F300C0 1F039D4E
	v_mfma_f32_16x16x32_fp8_fp8 v[196:199], a[72:73], a[216:217], 0// 000000005EB4: D3F300C4 1A03B148
	v_mfma_f32_16x16x32_fp8_fp8 v[196:199], a[74:75], a[218:219], v[196:199]// 000000005EBC: D3F300C4 1F13B54A
	v_mfma_f32_16x16x32_fp8_fp8 v[196:199], a[76:77], a[220:221], v[196:199]// 000000005EC4: D3F300C4 1F13B94C
	v_mfma_f32_16x16x32_fp8_fp8 v[196:199], a[78:79], a[222:223], v[196:199]// 000000005ECC: D3F300C4 1F13BD4E
	v_mfma_f32_16x16x32_fp8_fp8 v[200:203], a[72:73], a[232:233], 0// 000000005ED4: D3F300C8 1A03D148
	v_mfma_f32_16x16x32_fp8_fp8 v[200:203], a[74:75], a[234:235], v[200:203]// 000000005EDC: D3F300C8 1F23D54A
	buffer_load_dwordx4 a[12:15], v47, s[24:27], 0 offen offset:3072// 000000005EE4: E05C1C00 80860C2F
	v_mfma_f32_16x16x32_fp8_fp8 v[200:203], a[76:77], a[236:237], v[200:203]// 000000005EEC: D3F300C8 1F23D94C
	v_mfma_f32_16x16x32_fp8_fp8 v[200:203], a[78:79], a[238:239], v[200:203]// 000000005EF4: D3F300C8 1F23DD4E
	v_mfma_f32_16x16x32_fp8_fp8 v[204:207], a[72:73], a[248:249], 0// 000000005EFC: D3F300CC 1A03F148
	v_mfma_f32_16x16x32_fp8_fp8 v[204:207], a[74:75], a[250:251], v[204:207]// 000000005F04: D3F300CC 1F33F54A
	v_mfma_f32_16x16x32_fp8_fp8 v[204:207], a[76:77], a[252:253], v[204:207]// 000000005F0C: D3F300CC 1F33F94C
	v_mfma_f32_16x16x32_fp8_fp8 v[204:207], a[78:79], a[254:255], v[204:207]// 000000005F14: D3F300CC 1F33FD4E
	s_waitcnt vmcnt(13)                                        // 000000005F1C: BF8C0F7D
	v_mfma_f32_16x16x32_fp8_fp8 v[208:211], a[88:89], a[200:201], 0// 000000005F20: D3F300D0 1A039158
	v_mfma_f32_16x16x32_fp8_fp8 v[208:211], a[90:91], a[202:203], v[208:211]// 000000005F28: D3F300D0 1F43955A
	buffer_load_dwordx4 a[24:27], v48, s[24:27], 0 offen offset:2048// 000000005F30: E05C1800 80861830
	v_mfma_f32_16x16x32_fp8_fp8 v[208:211], a[92:93], a[204:205], v[208:211]// 000000005F38: D3F300D0 1F43995C
	v_mfma_f32_16x16x32_fp8_fp8 v[208:211], a[94:95], a[206:207], v[208:211]// 000000005F40: D3F300D0 1F439D5E
	v_mfma_f32_16x16x32_fp8_fp8 v[212:215], a[88:89], a[216:217], 0// 000000005F48: D3F300D4 1A03B158
	v_mfma_f32_16x16x32_fp8_fp8 v[212:215], a[90:91], a[218:219], v[212:215]// 000000005F50: D3F300D4 1F53B55A
	v_mfma_f32_16x16x32_fp8_fp8 v[212:215], a[92:93], a[220:221], v[212:215]// 000000005F58: D3F300D4 1F53B95C
	v_mfma_f32_16x16x32_fp8_fp8 v[212:215], a[94:95], a[222:223], v[212:215]// 000000005F60: D3F300D4 1F53BD5E
	v_mfma_f32_16x16x32_fp8_fp8 v[216:219], a[88:89], a[232:233], 0// 000000005F68: D3F300D8 1A03D158
	v_mfma_f32_16x16x32_fp8_fp8 v[216:219], a[90:91], a[234:235], v[216:219]// 000000005F70: D3F300D8 1F63D55A
	buffer_load_dwordx4 a[28:31], v48, s[24:27], 0 offen offset:3072// 000000005F78: E05C1C00 80861C30
	v_mfma_f32_16x16x32_fp8_fp8 v[216:219], a[92:93], a[236:237], v[216:219]// 000000005F80: D3F300D8 1F63D95C
	v_mfma_f32_16x16x32_fp8_fp8 v[216:219], a[94:95], a[238:239], v[216:219]// 000000005F88: D3F300D8 1F63DD5E
	v_mfma_f32_16x16x32_fp8_fp8 v[220:223], a[88:89], a[248:249], 0// 000000005F90: D3F300DC 1A03F158
	v_mfma_f32_16x16x32_fp8_fp8 v[220:223], a[90:91], a[250:251], v[220:223]// 000000005F98: D3F300DC 1F73F55A
	v_mfma_f32_16x16x32_fp8_fp8 v[220:223], a[92:93], a[252:253], v[220:223]// 000000005FA0: D3F300DC 1F73F95C
	v_mfma_f32_16x16x32_fp8_fp8 v[220:223], a[94:95], a[254:255], v[220:223]// 000000005FA8: D3F300DC 1F73FD5E
	s_waitcnt vmcnt(13)                                        // 000000005FB0: BF8C0F7D
	v_mfma_f32_16x16x32_fp8_fp8 v[224:227], a[104:105], a[200:201], 0// 000000005FB4: D3F300E0 1A039168
	v_mfma_f32_16x16x32_fp8_fp8 v[224:227], a[106:107], a[202:203], v[224:227]// 000000005FBC: D3F300E0 1F83956A
	buffer_load_dwordx4 a[40:43], v49, s[24:27], 0 offen offset:2048// 000000005FC4: E05C1800 80862831
	v_mfma_f32_16x16x32_fp8_fp8 v[224:227], a[108:109], a[204:205], v[224:227]// 000000005FCC: D3F300E0 1F83996C
	v_mfma_f32_16x16x32_fp8_fp8 v[224:227], a[110:111], a[206:207], v[224:227]// 000000005FD4: D3F300E0 1F839D6E
	v_mfma_f32_16x16x32_fp8_fp8 v[228:231], a[104:105], a[216:217], 0// 000000005FDC: D3F300E4 1A03B168
	v_mfma_f32_16x16x32_fp8_fp8 v[228:231], a[106:107], a[218:219], v[228:231]// 000000005FE4: D3F300E4 1F93B56A
	v_mfma_f32_16x16x32_fp8_fp8 v[228:231], a[108:109], a[220:221], v[228:231]// 000000005FEC: D3F300E4 1F93B96C
	v_mfma_f32_16x16x32_fp8_fp8 v[228:231], a[110:111], a[222:223], v[228:231]// 000000005FF4: D3F300E4 1F93BD6E
	v_mfma_f32_16x16x32_fp8_fp8 v[232:235], a[104:105], a[232:233], 0// 000000005FFC: D3F300E8 1A03D168
	v_mfma_f32_16x16x32_fp8_fp8 v[232:235], a[106:107], a[234:235], v[232:235]// 000000006004: D3F300E8 1FA3D56A
	buffer_load_dwordx4 a[44:47], v49, s[24:27], 0 offen offset:3072// 00000000600C: E05C1C00 80862C31
	v_mfma_f32_16x16x32_fp8_fp8 v[232:235], a[108:109], a[236:237], v[232:235]// 000000006014: D3F300E8 1FA3D96C
	v_mfma_f32_16x16x32_fp8_fp8 v[232:235], a[110:111], a[238:239], v[232:235]// 00000000601C: D3F300E8 1FA3DD6E
	v_mfma_f32_16x16x32_fp8_fp8 v[236:239], a[104:105], a[248:249], 0// 000000006024: D3F300EC 1A03F168
	v_mfma_f32_16x16x32_fp8_fp8 v[236:239], a[106:107], a[250:251], v[236:239]// 00000000602C: D3F300EC 1FB3F56A
	v_mfma_f32_16x16x32_fp8_fp8 v[236:239], a[108:109], a[252:253], v[236:239]// 000000006034: D3F300EC 1FB3F96C
	v_mfma_f32_16x16x32_fp8_fp8 v[236:239], a[110:111], a[254:255], v[236:239]// 00000000603C: D3F300EC 1FB3FD6E
	s_waitcnt vmcnt(13)                                        // 000000006044: BF8C0F7D
	v_mfma_f32_16x16x32_fp8_fp8 v[240:243], a[120:121], a[200:201], 0// 000000006048: D3F300F0 1A039178
	v_mfma_f32_16x16x32_fp8_fp8 v[240:243], a[122:123], a[202:203], v[240:243]// 000000006050: D3F300F0 1FC3957A
	buffer_load_dwordx4 a[56:59], v50, s[24:27], 0 offen offset:2048// 000000006058: E05C1800 80863832
	v_mfma_f32_16x16x32_fp8_fp8 v[240:243], a[124:125], a[204:205], v[240:243]// 000000006060: D3F300F0 1FC3997C
	v_mfma_f32_16x16x32_fp8_fp8 v[240:243], a[126:127], a[206:207], v[240:243]// 000000006068: D3F300F0 1FC39D7E
	v_mfma_f32_16x16x32_fp8_fp8 v[244:247], a[120:121], a[216:217], 0// 000000006070: D3F300F4 1A03B178
	v_mfma_f32_16x16x32_fp8_fp8 v[244:247], a[122:123], a[218:219], v[244:247]// 000000006078: D3F300F4 1FD3B57A
	v_mfma_f32_16x16x32_fp8_fp8 v[244:247], a[124:125], a[220:221], v[244:247]// 000000006080: D3F300F4 1FD3B97C
	v_mfma_f32_16x16x32_fp8_fp8 v[244:247], a[126:127], a[222:223], v[244:247]// 000000006088: D3F300F4 1FD3BD7E
	v_mfma_f32_16x16x32_fp8_fp8 v[248:251], a[120:121], a[232:233], 0// 000000006090: D3F300F8 1A03D178
	v_mfma_f32_16x16x32_fp8_fp8 v[248:251], a[122:123], a[234:235], v[248:251]// 000000006098: D3F300F8 1FE3D57A
	buffer_load_dwordx4 a[60:63], v50, s[24:27], 0 offen offset:3072// 0000000060A0: E05C1C00 80863C32
	v_mfma_f32_16x16x32_fp8_fp8 v[248:251], a[124:125], a[236:237], v[248:251]// 0000000060A8: D3F300F8 1FE3D97C
	v_mfma_f32_16x16x32_fp8_fp8 v[248:251], a[126:127], a[238:239], v[248:251]// 0000000060B0: D3F300F8 1FE3DD7E
	v_mfma_f32_16x16x32_fp8_fp8 v[252:255], a[120:121], a[248:249], 0// 0000000060B8: D3F300FC 1A03F178
	v_mfma_f32_16x16x32_fp8_fp8 v[252:255], a[122:123], a[250:251], v[252:255]// 0000000060C0: D3F300FC 1FF3F57A
	v_mfma_f32_16x16x32_fp8_fp8 v[252:255], a[124:125], a[252:253], v[252:255]// 0000000060C8: D3F300FC 1FF3F97C
	v_mfma_f32_16x16x32_fp8_fp8 v[252:255], a[126:127], a[254:255], v[252:255]// 0000000060D0: D3F300FC 1FF3FD7E
	v_mul_f32_dpp v60, v38, v33 row_newbcast:2 row_mask:0xf bank_mask:0xf// 0000000060D8: 0A7842FA FF015226
	v_mov_b32_e32 v61, v60                                     // 0000000060E0: 7E7A033C
	v_pk_fma_f32 v[128:129], v[192:193], v[60:61], v[128:129]  // 0000000060E4: D3B04080 1E0279C0
	v_pk_fma_f32 v[130:131], v[194:195], v[60:61], v[130:131]  // 0000000060EC: D3B04082 1E0A79C2
	v_pk_fma_f32 v[144:145], v[208:209], v[60:61], v[144:145]  // 0000000060F4: D3B04090 1E4279D0
	v_pk_fma_f32 v[146:147], v[210:211], v[60:61], v[146:147]  // 0000000060FC: D3B04092 1E4A79D2
	v_mul_f32_dpp v60, v38, v33 row_newbcast:3 row_mask:0xf bank_mask:0xf// 000000006104: 0A7842FA FF015326
	v_mov_b32_e32 v61, v60                                     // 00000000610C: 7E7A033C
	v_pk_fma_f32 v[160:161], v[224:225], v[60:61], v[160:161]  // 000000006110: D3B040A0 1E8279E0
	v_pk_fma_f32 v[162:163], v[226:227], v[60:61], v[162:163]  // 000000006118: D3B040A2 1E8A79E2
	v_pk_fma_f32 v[176:177], v[240:241], v[60:61], v[176:177]  // 000000006120: D3B040B0 1EC279F0
	v_pk_fma_f32 v[178:179], v[242:243], v[60:61], v[178:179]  // 000000006128: D3B040B2 1ECA79F2
	v_mul_f32_dpp v60, v38, v34 row_newbcast:2 row_mask:0xf bank_mask:0xf// 000000006130: 0A7844FA FF015226
	v_mov_b32_e32 v61, v60                                     // 000000006138: 7E7A033C
	v_pk_fma_f32 v[132:133], v[196:197], v[60:61], v[132:133]  // 00000000613C: D3B04084 1E1279C4
	v_pk_fma_f32 v[134:135], v[198:199], v[60:61], v[134:135]  // 000000006144: D3B04086 1E1A79C6
	v_pk_fma_f32 v[148:149], v[212:213], v[60:61], v[148:149]  // 00000000614C: D3B04094 1E5279D4
	v_pk_fma_f32 v[150:151], v[214:215], v[60:61], v[150:151]  // 000000006154: D3B04096 1E5A79D6
	v_mul_f32_dpp v60, v38, v34 row_newbcast:3 row_mask:0xf bank_mask:0xf// 00000000615C: 0A7844FA FF015326
	v_mov_b32_e32 v61, v60                                     // 000000006164: 7E7A033C
	v_pk_fma_f32 v[164:165], v[228:229], v[60:61], v[164:165]  // 000000006168: D3B040A4 1E9279E4
	v_pk_fma_f32 v[166:167], v[230:231], v[60:61], v[166:167]  // 000000006170: D3B040A6 1E9A79E6
	v_pk_fma_f32 v[180:181], v[244:245], v[60:61], v[180:181]  // 000000006178: D3B040B4 1ED279F4
	v_pk_fma_f32 v[182:183], v[246:247], v[60:61], v[182:183]  // 000000006180: D3B040B6 1EDA79F6
	v_mul_f32_dpp v60, v38, v35 row_newbcast:2 row_mask:0xf bank_mask:0xf// 000000006188: 0A7846FA FF015226
	v_mov_b32_e32 v61, v60                                     // 000000006190: 7E7A033C
	v_pk_fma_f32 v[136:137], v[200:201], v[60:61], v[136:137]  // 000000006194: D3B04088 1E2279C8
	v_pk_fma_f32 v[138:139], v[202:203], v[60:61], v[138:139]  // 00000000619C: D3B0408A 1E2A79CA
	v_pk_fma_f32 v[152:153], v[216:217], v[60:61], v[152:153]  // 0000000061A4: D3B04098 1E6279D8
	v_pk_fma_f32 v[154:155], v[218:219], v[60:61], v[154:155]  // 0000000061AC: D3B0409A 1E6A79DA
	v_mul_f32_dpp v60, v38, v35 row_newbcast:3 row_mask:0xf bank_mask:0xf// 0000000061B4: 0A7846FA FF015326
	v_mov_b32_e32 v61, v60                                     // 0000000061BC: 7E7A033C
	v_pk_fma_f32 v[168:169], v[232:233], v[60:61], v[168:169]  // 0000000061C0: D3B040A8 1EA279E8
	v_pk_fma_f32 v[170:171], v[234:235], v[60:61], v[170:171]  // 0000000061C8: D3B040AA 1EAA79EA
	v_pk_fma_f32 v[184:185], v[248:249], v[60:61], v[184:185]  // 0000000061D0: D3B040B8 1EE279F8
	v_pk_fma_f32 v[186:187], v[250:251], v[60:61], v[186:187]  // 0000000061D8: D3B040BA 1EEA79FA
	v_mul_f32_dpp v60, v38, v36 row_newbcast:2 row_mask:0xf bank_mask:0xf// 0000000061E0: 0A7848FA FF015226
	v_mov_b32_e32 v61, v60                                     // 0000000061E8: 7E7A033C
	v_pk_fma_f32 v[140:141], v[204:205], v[60:61], v[140:141]  // 0000000061EC: D3B0408C 1E3279CC
	v_pk_fma_f32 v[142:143], v[206:207], v[60:61], v[142:143]  // 0000000061F4: D3B0408E 1E3A79CE
	v_pk_fma_f32 v[156:157], v[220:221], v[60:61], v[156:157]  // 0000000061FC: D3B0409C 1E7279DC
	v_pk_fma_f32 v[158:159], v[222:223], v[60:61], v[158:159]  // 000000006204: D3B0409E 1E7A79DE
	v_mul_f32_dpp v60, v38, v36 row_newbcast:3 row_mask:0xf bank_mask:0xf// 00000000620C: 0A7848FA FF015326
	v_mov_b32_e32 v61, v60                                     // 000000006214: 7E7A033C
	v_pk_fma_f32 v[172:173], v[236:237], v[60:61], v[172:173]  // 000000006218: D3B040AC 1EB279EC
	v_pk_fma_f32 v[174:175], v[238:239], v[60:61], v[174:175]  // 000000006220: D3B040AE 1EBA79EE
	v_pk_fma_f32 v[188:189], v[252:253], v[60:61], v[188:189]  // 000000006228: D3B040BC 1EF279FC
	v_pk_fma_f32 v[190:191], v[254:255], v[60:61], v[190:191]  // 000000006230: D3B040BE 1EFA79FE
	s_add_u32 s56, 0x200, s76                                  // 000000006238: 80384CFF 00000200
	s_cmp_lt_u32 s56, s77                                      // 000000006240: BF0A4D38
	s_cselect_b32 s53, s53, 0                                  // 000000006244: 85358035
	s_cselect_b32 s3, s3, 0                                    // 000000006248: 85038003
	s_add_u32 s56, 0x200, s76                                  // 00000000624C: 80384CFF 00000200
	s_cmp_lt_u32 s56, s77                                      // 000000006254: BF0A4D38
	s_cselect_b32 s54, s54, 0                                  // 000000006258: 85368036
	s_add_u32 s20, s53, s20                                    // 00000000625C: 80141435
	s_addc_u32 s21, 0, s21                                     // 000000006260: 82151580
	s_add_u32 s28, s3, s28                                     // 000000006264: 801C1C03
	s_addc_u32 s29, 0, s29                                     // 000000006268: 821D1D80
	s_add_u32 s24, s54, s24                                    // 00000000626C: 80181836
	s_addc_u32 s25, 0, s25                                     // 000000006270: 82191980
	s_add_u32 s96, s94, s96                                    // 000000006274: 8060605E
	s_addc_u32 s97, 0, s97                                     // 000000006278: 82616180
	s_addk_i32 s76, 0x100                                      // 00000000627C: B74C0100
	s_cmp_lt_i32 s76, s77                                      // 000000006280: BF044D4C
	s_cbranch_scc0 label_0D23                                  // 000000006284: BF840001
	s_branch label_043A                                        // 000000006288: BF82F717

000000000000628c <label_0D23>:
	s_mov_b32 s20, 0                                           // 00000000628C: BE940080
	s_cmp_lt_u32 s93, s62                                      // 000000006290: BF0A3E5D
	s_cselect_b32 s56, 0, 1                                    // 000000006294: 85388180
	s_lshl1_add_u32 s20, s20, s56                              // 000000006298: 97143814
	s_cmp_lt_u32 s92, s62                                      // 00000000629C: BF0A3E5C
	s_cselect_b32 s56, 0, 1                                    // 0000000062A0: 85388180
	s_lshl1_add_u32 s20, s20, s56                              // 0000000062A4: 97143814
	s_cmp_lt_u32 s91, s62                                      // 0000000062A8: BF0A3E5B
	s_cselect_b32 s56, 0, 1                                    // 0000000062AC: 85388180
	s_lshl1_add_u32 s20, s20, s56                              // 0000000062B0: 97143814
	s_cmp_lt_u32 s90, s62                                      // 0000000062B4: BF0A3E5A
	s_cselect_b32 s56, 0, 1                                    // 0000000062B8: 85388180
	s_lshl1_add_u32 s20, s20, s56                              // 0000000062BC: 97143814
	s_cmp_lt_u32 s89, s62                                      // 0000000062C0: BF0A3E59
	s_cselect_b32 s56, 0, 1                                    // 0000000062C4: 85388180
	s_lshl1_add_u32 s20, s20, s56                              // 0000000062C8: 97143814
	s_cmp_lt_u32 s88, s62                                      // 0000000062CC: BF0A3E58
	s_cselect_b32 s56, 0, 1                                    // 0000000062D0: 85388180
	s_lshl1_add_u32 s20, s20, s56                              // 0000000062D4: 97143814
	s_cmp_lt_u32 s87, s62                                      // 0000000062D8: BF0A3E57
	s_cselect_b32 s56, 0, 1                                    // 0000000062DC: 85388180
	s_lshl1_add_u32 s20, s20, s56                              // 0000000062E0: 97143814
	s_cmp_lt_u32 s86, s62                                      // 0000000062E4: BF0A3E56
	s_cselect_b32 s56, 0, 1                                    // 0000000062E8: 85388180
	s_lshl1_add_u32 s20, s20, s56                              // 0000000062EC: 97143814
	s_cmp_lt_u32 s85, s62                                      // 0000000062F0: BF0A3E55
	s_cselect_b32 s56, 0, 1                                    // 0000000062F4: 85388180
	s_lshl1_add_u32 s20, s20, s56                              // 0000000062F8: 97143814
	s_cmp_lt_u32 s84, s62                                      // 0000000062FC: BF0A3E54
	s_cselect_b32 s56, 0, 1                                    // 000000006300: 85388180
	s_lshl1_add_u32 s20, s20, s56                              // 000000006304: 97143814
	s_cmp_lt_u32 s83, s62                                      // 000000006308: BF0A3E53
	s_cselect_b32 s56, 0, 1                                    // 00000000630C: 85388180
	s_lshl1_add_u32 s20, s20, s56                              // 000000006310: 97143814
	s_cmp_lt_u32 s82, s62                                      // 000000006314: BF0A3E52
	s_cselect_b32 s56, 0, 1                                    // 000000006318: 85388180
	s_lshl1_add_u32 s20, s20, s56                              // 00000000631C: 97143814
	s_cmp_lt_u32 s81, s62                                      // 000000006320: BF0A3E51
	s_cselect_b32 s56, 0, 1                                    // 000000006324: 85388180
	s_lshl1_add_u32 s20, s20, s56                              // 000000006328: 97143814
	s_cmp_lt_u32 s80, s62                                      // 00000000632C: BF0A3E50
	s_cselect_b32 s56, 0, 1                                    // 000000006330: 85388180
	s_lshl1_add_u32 s20, s20, s56                              // 000000006334: 97143814
	s_cmp_lt_u32 s79, s62                                      // 000000006338: BF0A3E4F
	s_cselect_b32 s56, 0, 1                                    // 00000000633C: 85388180
	s_lshl1_add_u32 s20, s20, s56                              // 000000006340: 97143814
	s_cmp_lt_u32 s78, s62                                      // 000000006344: BF0A3E4E
	s_cselect_b32 s56, 0, 1                                    // 000000006348: 85388180
	s_lshl1_add_u32 s20, s20, s56                              // 00000000634C: 97143814
	s_waitcnt vmcnt(12)                                        // 000000006350: BF8C0F7C
	buffer_load_dwordx4 a[0:3], v51, s[12:15], 0 offen         // 000000006354: E05C1000 80830033
	v_mul_f32_e32 v60, v64, v64                                // 00000000635C: 0A788140
	v_mul_f32_e32 v61, v65, v65                                // 000000006360: 0A7A8341
	v_mul_f32_e32 v62, v66, v66                                // 000000006364: 0A7C8542
	v_mul_f32_e32 v63, v67, v67                                // 000000006368: 0A7E8743
	s_mov_b32 s3, 0xbd92220c                                   // 00000000636C: BE8300FF BD92220C
	v_fma_f32 v60, v60, s3, v1                                 // 000000006374: D1CB003C 0404073C
	v_fma_f32 v61, v61, s3, v1                                 // 00000000637C: D1CB003D 0404073D
	v_fma_f32 v62, v62, s3, v1                                 // 000000006384: D1CB003E 0404073E
	v_fma_f32 v63, v63, s3, v1                                 // 00000000638C: D1CB003F 0404073F
	v_mul_f32_e32 v60, v60, v64                                // 000000006394: 0A78813C
	v_mul_f32_e32 v61, v61, v65                                // 000000006398: 0A7A833D
	v_mul_f32_e32 v62, v62, v66                                // 00000000639C: 0A7C853E
	v_mul_f32_e32 v63, v63, v67                                // 0000000063A0: 0A7E873F
	v_mul_f32_e64 v60, v60, s6                                 // 0000000063A4: D105003C 00000D3C
	v_mul_f32_e64 v61, v61, s6                                 // 0000000063AC: D105003D 00000D3D
	v_mul_f32_e64 v62, v62, s6                                 // 0000000063B4: D105003E 00000D3E
	v_mul_f32_e64 v63, v63, s6                                 // 0000000063BC: D105003F 00000D3F
	v_exp_f32_e32 v60, v60                                     // 0000000063C4: 7E78413C
	v_exp_f32_e32 v61, v61                                     // 0000000063C8: 7E7A413D
	v_exp_f32_e32 v62, v62                                     // 0000000063CC: 7E7C413E
	v_exp_f32_e32 v63, v63                                     // 0000000063D0: 7E7E413F
	buffer_load_dwordx4 a[4:7], v52, s[12:15], 0 offen         // 0000000063D4: E05C1000 80830434
	v_add_f32_e64 v60, v60, 1.0                                // 0000000063DC: D101003C 0001E53C
	v_add_f32_e64 v61, v61, 1.0                                // 0000000063E4: D101003D 0001E53D
	v_add_f32_e64 v62, v62, 1.0                                // 0000000063EC: D101003E 0001E53E
	v_add_f32_e64 v63, v63, 1.0                                // 0000000063F4: D101003F 0001E53F
	v_rcp_f32_e32 v60, v60                                     // 0000000063FC: 7E78453C
	v_rcp_f32_e32 v61, v61                                     // 000000006400: 7E7A453D
	v_rcp_f32_e32 v62, v62                                     // 000000006404: 7E7C453E
	v_rcp_f32_e32 v63, v63                                     // 000000006408: 7E7E453F
	v_mul_f32_e32 v64, v64, v60                                // 00000000640C: 0A807940
	v_mul_f32_e32 v65, v65, v61                                // 000000006410: 0A827B41
	v_mul_f32_e32 v66, v66, v62                                // 000000006414: 0A847D42
	v_mul_f32_e32 v67, v67, v63                                // 000000006418: 0A867F43
	v_mul_f32_e32 v64, v64, v128                               // 00000000641C: 0A810140
	v_mul_f32_e32 v65, v65, v129                               // 000000006420: 0A830341
	v_mul_f32_e32 v66, v66, v130                               // 000000006424: 0A850542
	v_mul_f32_e32 v67, v67, v131                               // 000000006428: 0A870743
	buffer_load_dwordx4 a[8:11], v53, s[12:15], 0 offen        // 00000000642C: E05C1000 80830835
	v_mul_f32_e32 v60, v68, v68                                // 000000006434: 0A788944
	v_mul_f32_e32 v61, v69, v69                                // 000000006438: 0A7A8B45
	v_mul_f32_e32 v62, v70, v70                                // 00000000643C: 0A7C8D46
	v_mul_f32_e32 v63, v71, v71                                // 000000006440: 0A7E8F47
	s_mov_b32 s3, 0xbd92220c                                   // 000000006444: BE8300FF BD92220C
	v_fma_f32 v60, v60, s3, v1                                 // 00000000644C: D1CB003C 0404073C
	v_fma_f32 v61, v61, s3, v1                                 // 000000006454: D1CB003D 0404073D
	v_fma_f32 v62, v62, s3, v1                                 // 00000000645C: D1CB003E 0404073E
	v_fma_f32 v63, v63, s3, v1                                 // 000000006464: D1CB003F 0404073F
	v_mul_f32_e32 v60, v60, v68                                // 00000000646C: 0A78893C
	v_mul_f32_e32 v61, v61, v69                                // 000000006470: 0A7A8B3D
	v_mul_f32_e32 v62, v62, v70                                // 000000006474: 0A7C8D3E
	v_mul_f32_e32 v63, v63, v71                                // 000000006478: 0A7E8F3F
	v_mul_f32_e64 v60, v60, s6                                 // 00000000647C: D105003C 00000D3C
	v_mul_f32_e64 v61, v61, s6                                 // 000000006484: D105003D 00000D3D
	v_mul_f32_e64 v62, v62, s6                                 // 00000000648C: D105003E 00000D3E
	v_mul_f32_e64 v63, v63, s6                                 // 000000006494: D105003F 00000D3F
	v_exp_f32_e32 v60, v60                                     // 00000000649C: 7E78413C
	v_exp_f32_e32 v61, v61                                     // 0000000064A0: 7E7A413D
	v_exp_f32_e32 v62, v62                                     // 0000000064A4: 7E7C413E
	v_exp_f32_e32 v63, v63                                     // 0000000064A8: 7E7E413F
	buffer_load_dwordx4 a[12:15], v54, s[12:15], 0 offen       // 0000000064AC: E05C1000 80830C36
	s_add_u32 s12, s74, s12                                    // 0000000064B4: 800C0C4A
	s_addc_u32 s13, 0, s13                                     // 0000000064B8: 820D0D80
	v_add_f32_e64 v60, v60, 1.0                                // 0000000064BC: D101003C 0001E53C
	v_add_f32_e64 v61, v61, 1.0                                // 0000000064C4: D101003D 0001E53D
	v_add_f32_e64 v62, v62, 1.0                                // 0000000064CC: D101003E 0001E53E
	v_add_f32_e64 v63, v63, 1.0                                // 0000000064D4: D101003F 0001E53F
	v_rcp_f32_e32 v60, v60                                     // 0000000064DC: 7E78453C
	v_rcp_f32_e32 v61, v61                                     // 0000000064E0: 7E7A453D
	v_rcp_f32_e32 v62, v62                                     // 0000000064E4: 7E7C453E
	v_rcp_f32_e32 v63, v63                                     // 0000000064E8: 7E7E453F
	v_mul_f32_e32 v68, v68, v60                                // 0000000064EC: 0A887944
	v_mul_f32_e32 v69, v69, v61                                // 0000000064F0: 0A8A7B45
	v_mul_f32_e32 v70, v70, v62                                // 0000000064F4: 0A8C7D46
	v_mul_f32_e32 v71, v71, v63                                // 0000000064F8: 0A8E7F47
	v_mul_f32_e32 v68, v68, v132                               // 0000000064FC: 0A890944
	v_mul_f32_e32 v69, v69, v133                               // 000000006500: 0A8B0B45
	v_mul_f32_e32 v70, v70, v134                               // 000000006504: 0A8D0D46
	v_mul_f32_e32 v71, v71, v135                               // 000000006508: 0A8F0F47
	s_waitcnt vmcnt(12)                                        // 00000000650C: BF8C0F7C
	buffer_load_dwordx4 a[16:19], v51, s[12:15], 0 offen       // 000000006510: E05C1000 80831033
	v_mul_f32_e32 v60, v72, v72                                // 000000006518: 0A789148
	v_mul_f32_e32 v61, v73, v73                                // 00000000651C: 0A7A9349
	v_mul_f32_e32 v62, v74, v74                                // 000000006520: 0A7C954A
	v_mul_f32_e32 v63, v75, v75                                // 000000006524: 0A7E974B
	s_mov_b32 s3, 0xbd92220c                                   // 000000006528: BE8300FF BD92220C
	v_fma_f32 v60, v60, s3, v1                                 // 000000006530: D1CB003C 0404073C
	v_fma_f32 v61, v61, s3, v1                                 // 000000006538: D1CB003D 0404073D
	v_fma_f32 v62, v62, s3, v1                                 // 000000006540: D1CB003E 0404073E
	v_fma_f32 v63, v63, s3, v1                                 // 000000006548: D1CB003F 0404073F
	v_mul_f32_e32 v60, v60, v72                                // 000000006550: 0A78913C
	v_mul_f32_e32 v61, v61, v73                                // 000000006554: 0A7A933D
	v_mul_f32_e32 v62, v62, v74                                // 000000006558: 0A7C953E
	v_mul_f32_e32 v63, v63, v75                                // 00000000655C: 0A7E973F
	v_mul_f32_e64 v60, v60, s6                                 // 000000006560: D105003C 00000D3C
	v_mul_f32_e64 v61, v61, s6                                 // 000000006568: D105003D 00000D3D
	v_mul_f32_e64 v62, v62, s6                                 // 000000006570: D105003E 00000D3E
	v_mul_f32_e64 v63, v63, s6                                 // 000000006578: D105003F 00000D3F
	v_exp_f32_e32 v60, v60                                     // 000000006580: 7E78413C
	v_exp_f32_e32 v61, v61                                     // 000000006584: 7E7A413D
	v_exp_f32_e32 v62, v62                                     // 000000006588: 7E7C413E
	v_exp_f32_e32 v63, v63                                     // 00000000658C: 7E7E413F
	buffer_load_dwordx4 a[20:23], v52, s[12:15], 0 offen       // 000000006590: E05C1000 80831434
	v_add_f32_e64 v60, v60, 1.0                                // 000000006598: D101003C 0001E53C
	v_add_f32_e64 v61, v61, 1.0                                // 0000000065A0: D101003D 0001E53D
	v_add_f32_e64 v62, v62, 1.0                                // 0000000065A8: D101003E 0001E53E
	v_add_f32_e64 v63, v63, 1.0                                // 0000000065B0: D101003F 0001E53F
	v_rcp_f32_e32 v60, v60                                     // 0000000065B8: 7E78453C
	v_rcp_f32_e32 v61, v61                                     // 0000000065BC: 7E7A453D
	v_rcp_f32_e32 v62, v62                                     // 0000000065C0: 7E7C453E
	v_rcp_f32_e32 v63, v63                                     // 0000000065C4: 7E7E453F
	v_mul_f32_e32 v72, v72, v60                                // 0000000065C8: 0A907948
	v_mul_f32_e32 v73, v73, v61                                // 0000000065CC: 0A927B49
	v_mul_f32_e32 v74, v74, v62                                // 0000000065D0: 0A947D4A
	v_mul_f32_e32 v75, v75, v63                                // 0000000065D4: 0A967F4B
	v_mul_f32_e32 v72, v72, v136                               // 0000000065D8: 0A911148
	v_mul_f32_e32 v73, v73, v137                               // 0000000065DC: 0A931349
	v_mul_f32_e32 v74, v74, v138                               // 0000000065E0: 0A95154A
	v_mul_f32_e32 v75, v75, v139                               // 0000000065E4: 0A97174B
	buffer_load_dwordx4 a[24:27], v53, s[12:15], 0 offen       // 0000000065E8: E05C1000 80831835
	v_mul_f32_e32 v60, v76, v76                                // 0000000065F0: 0A78994C
	v_mul_f32_e32 v61, v77, v77                                // 0000000065F4: 0A7A9B4D
	v_mul_f32_e32 v62, v78, v78                                // 0000000065F8: 0A7C9D4E
	v_mul_f32_e32 v63, v79, v79                                // 0000000065FC: 0A7E9F4F
	s_mov_b32 s3, 0xbd92220c                                   // 000000006600: BE8300FF BD92220C
	v_fma_f32 v60, v60, s3, v1                                 // 000000006608: D1CB003C 0404073C
	v_fma_f32 v61, v61, s3, v1                                 // 000000006610: D1CB003D 0404073D
	v_fma_f32 v62, v62, s3, v1                                 // 000000006618: D1CB003E 0404073E
	v_fma_f32 v63, v63, s3, v1                                 // 000000006620: D1CB003F 0404073F
	v_mul_f32_e32 v60, v60, v76                                // 000000006628: 0A78993C
	v_mul_f32_e32 v61, v61, v77                                // 00000000662C: 0A7A9B3D
	v_mul_f32_e32 v62, v62, v78                                // 000000006630: 0A7C9D3E
	v_mul_f32_e32 v63, v63, v79                                // 000000006634: 0A7E9F3F
	v_mul_f32_e64 v60, v60, s6                                 // 000000006638: D105003C 00000D3C
	v_mul_f32_e64 v61, v61, s6                                 // 000000006640: D105003D 00000D3D
	v_mul_f32_e64 v62, v62, s6                                 // 000000006648: D105003E 00000D3E
	v_mul_f32_e64 v63, v63, s6                                 // 000000006650: D105003F 00000D3F
	v_exp_f32_e32 v60, v60                                     // 000000006658: 7E78413C
	v_exp_f32_e32 v61, v61                                     // 00000000665C: 7E7A413D
	v_exp_f32_e32 v62, v62                                     // 000000006660: 7E7C413E
	v_exp_f32_e32 v63, v63                                     // 000000006664: 7E7E413F
	buffer_load_dwordx4 a[28:31], v54, s[12:15], 0 offen       // 000000006668: E05C1000 80831C36
	s_add_u32 s12, s74, s12                                    // 000000006670: 800C0C4A
	s_addc_u32 s13, 0, s13                                     // 000000006674: 820D0D80
	v_add_f32_e64 v60, v60, 1.0                                // 000000006678: D101003C 0001E53C
	v_add_f32_e64 v61, v61, 1.0                                // 000000006680: D101003D 0001E53D
	v_add_f32_e64 v62, v62, 1.0                                // 000000006688: D101003E 0001E53E
	v_add_f32_e64 v63, v63, 1.0                                // 000000006690: D101003F 0001E53F
	v_rcp_f32_e32 v60, v60                                     // 000000006698: 7E78453C
	v_rcp_f32_e32 v61, v61                                     // 00000000669C: 7E7A453D
	v_rcp_f32_e32 v62, v62                                     // 0000000066A0: 7E7C453E
	v_rcp_f32_e32 v63, v63                                     // 0000000066A4: 7E7E453F
	v_mul_f32_e32 v76, v76, v60                                // 0000000066A8: 0A98794C
	v_mul_f32_e32 v77, v77, v61                                // 0000000066AC: 0A9A7B4D
	v_mul_f32_e32 v78, v78, v62                                // 0000000066B0: 0A9C7D4E
	v_mul_f32_e32 v79, v79, v63                                // 0000000066B4: 0A9E7F4F
	v_mul_f32_e32 v76, v76, v140                               // 0000000066B8: 0A99194C
	v_mul_f32_e32 v77, v77, v141                               // 0000000066BC: 0A9B1B4D
	v_mul_f32_e32 v78, v78, v142                               // 0000000066C0: 0A9D1D4E
	v_mul_f32_e32 v79, v79, v143                               // 0000000066C4: 0A9F1F4F
	s_waitcnt vmcnt(12)                                        // 0000000066C8: BF8C0F7C
	buffer_load_dwordx4 a[32:35], v51, s[12:15], 0 offen       // 0000000066CC: E05C1000 80832033
	v_mul_f32_e32 v60, v80, v80                                // 0000000066D4: 0A78A150
	v_mul_f32_e32 v61, v81, v81                                // 0000000066D8: 0A7AA351
	v_mul_f32_e32 v62, v82, v82                                // 0000000066DC: 0A7CA552
	v_mul_f32_e32 v63, v83, v83                                // 0000000066E0: 0A7EA753
	s_mov_b32 s3, 0xbd92220c                                   // 0000000066E4: BE8300FF BD92220C
	v_fma_f32 v60, v60, s3, v1                                 // 0000000066EC: D1CB003C 0404073C
	v_fma_f32 v61, v61, s3, v1                                 // 0000000066F4: D1CB003D 0404073D
	v_fma_f32 v62, v62, s3, v1                                 // 0000000066FC: D1CB003E 0404073E
	v_fma_f32 v63, v63, s3, v1                                 // 000000006704: D1CB003F 0404073F
	v_mul_f32_e32 v60, v60, v80                                // 00000000670C: 0A78A13C
	v_mul_f32_e32 v61, v61, v81                                // 000000006710: 0A7AA33D
	v_mul_f32_e32 v62, v62, v82                                // 000000006714: 0A7CA53E
	v_mul_f32_e32 v63, v63, v83                                // 000000006718: 0A7EA73F
	v_mul_f32_e64 v60, v60, s6                                 // 00000000671C: D105003C 00000D3C
	v_mul_f32_e64 v61, v61, s6                                 // 000000006724: D105003D 00000D3D
	v_mul_f32_e64 v62, v62, s6                                 // 00000000672C: D105003E 00000D3E
	v_mul_f32_e64 v63, v63, s6                                 // 000000006734: D105003F 00000D3F
	v_exp_f32_e32 v60, v60                                     // 00000000673C: 7E78413C
	v_exp_f32_e32 v61, v61                                     // 000000006740: 7E7A413D
	v_exp_f32_e32 v62, v62                                     // 000000006744: 7E7C413E
	v_exp_f32_e32 v63, v63                                     // 000000006748: 7E7E413F
	buffer_load_dwordx4 a[36:39], v52, s[12:15], 0 offen       // 00000000674C: E05C1000 80832434
	v_add_f32_e64 v60, v60, 1.0                                // 000000006754: D101003C 0001E53C
	v_add_f32_e64 v61, v61, 1.0                                // 00000000675C: D101003D 0001E53D
	v_add_f32_e64 v62, v62, 1.0                                // 000000006764: D101003E 0001E53E
	v_add_f32_e64 v63, v63, 1.0                                // 00000000676C: D101003F 0001E53F
	v_rcp_f32_e32 v60, v60                                     // 000000006774: 7E78453C
	v_rcp_f32_e32 v61, v61                                     // 000000006778: 7E7A453D
	v_rcp_f32_e32 v62, v62                                     // 00000000677C: 7E7C453E
	v_rcp_f32_e32 v63, v63                                     // 000000006780: 7E7E453F
	v_mul_f32_e32 v80, v80, v60                                // 000000006784: 0AA07950
	v_mul_f32_e32 v81, v81, v61                                // 000000006788: 0AA27B51
	v_mul_f32_e32 v82, v82, v62                                // 00000000678C: 0AA47D52
	v_mul_f32_e32 v83, v83, v63                                // 000000006790: 0AA67F53
	v_mul_f32_e32 v80, v80, v144                               // 000000006794: 0AA12150
	v_mul_f32_e32 v81, v81, v145                               // 000000006798: 0AA32351
	v_mul_f32_e32 v82, v82, v146                               // 00000000679C: 0AA52552
	v_mul_f32_e32 v83, v83, v147                               // 0000000067A0: 0AA72753
	buffer_load_dwordx4 a[40:43], v53, s[12:15], 0 offen       // 0000000067A4: E05C1000 80832835
	v_mul_f32_e32 v60, v84, v84                                // 0000000067AC: 0A78A954
	v_mul_f32_e32 v61, v85, v85                                // 0000000067B0: 0A7AAB55
	v_mul_f32_e32 v62, v86, v86                                // 0000000067B4: 0A7CAD56
	v_mul_f32_e32 v63, v87, v87                                // 0000000067B8: 0A7EAF57
	s_mov_b32 s3, 0xbd92220c                                   // 0000000067BC: BE8300FF BD92220C
	v_fma_f32 v60, v60, s3, v1                                 // 0000000067C4: D1CB003C 0404073C
	v_fma_f32 v61, v61, s3, v1                                 // 0000000067CC: D1CB003D 0404073D
	v_fma_f32 v62, v62, s3, v1                                 // 0000000067D4: D1CB003E 0404073E
	v_fma_f32 v63, v63, s3, v1                                 // 0000000067DC: D1CB003F 0404073F
	v_mul_f32_e32 v60, v60, v84                                // 0000000067E4: 0A78A93C
	v_mul_f32_e32 v61, v61, v85                                // 0000000067E8: 0A7AAB3D
	v_mul_f32_e32 v62, v62, v86                                // 0000000067EC: 0A7CAD3E
	v_mul_f32_e32 v63, v63, v87                                // 0000000067F0: 0A7EAF3F
	v_mul_f32_e64 v60, v60, s6                                 // 0000000067F4: D105003C 00000D3C
	v_mul_f32_e64 v61, v61, s6                                 // 0000000067FC: D105003D 00000D3D
	v_mul_f32_e64 v62, v62, s6                                 // 000000006804: D105003E 00000D3E
	v_mul_f32_e64 v63, v63, s6                                 // 00000000680C: D105003F 00000D3F
	v_exp_f32_e32 v60, v60                                     // 000000006814: 7E78413C
	v_exp_f32_e32 v61, v61                                     // 000000006818: 7E7A413D
	v_exp_f32_e32 v62, v62                                     // 00000000681C: 7E7C413E
	v_exp_f32_e32 v63, v63                                     // 000000006820: 7E7E413F
	buffer_load_dwordx4 a[44:47], v54, s[12:15], 0 offen       // 000000006824: E05C1000 80832C36
	s_add_u32 s12, s74, s12                                    // 00000000682C: 800C0C4A
	s_addc_u32 s13, 0, s13                                     // 000000006830: 820D0D80
	v_add_f32_e64 v60, v60, 1.0                                // 000000006834: D101003C 0001E53C
	v_add_f32_e64 v61, v61, 1.0                                // 00000000683C: D101003D 0001E53D
	v_add_f32_e64 v62, v62, 1.0                                // 000000006844: D101003E 0001E53E
	v_add_f32_e64 v63, v63, 1.0                                // 00000000684C: D101003F 0001E53F
	v_rcp_f32_e32 v60, v60                                     // 000000006854: 7E78453C
	v_rcp_f32_e32 v61, v61                                     // 000000006858: 7E7A453D
	v_rcp_f32_e32 v62, v62                                     // 00000000685C: 7E7C453E
	v_rcp_f32_e32 v63, v63                                     // 000000006860: 7E7E453F
	v_mul_f32_e32 v84, v84, v60                                // 000000006864: 0AA87954
	v_mul_f32_e32 v85, v85, v61                                // 000000006868: 0AAA7B55
	v_mul_f32_e32 v86, v86, v62                                // 00000000686C: 0AAC7D56
	v_mul_f32_e32 v87, v87, v63                                // 000000006870: 0AAE7F57
	v_mul_f32_e32 v84, v84, v148                               // 000000006874: 0AA92954
	v_mul_f32_e32 v85, v85, v149                               // 000000006878: 0AAB2B55
	v_mul_f32_e32 v86, v86, v150                               // 00000000687C: 0AAD2D56
	v_mul_f32_e32 v87, v87, v151                               // 000000006880: 0AAF2F57
	s_waitcnt vmcnt(12)                                        // 000000006884: BF8C0F7C
	buffer_load_dwordx4 a[48:51], v51, s[12:15], 0 offen       // 000000006888: E05C1000 80833033
	v_mul_f32_e32 v60, v88, v88                                // 000000006890: 0A78B158
	v_mul_f32_e32 v61, v89, v89                                // 000000006894: 0A7AB359
	v_mul_f32_e32 v62, v90, v90                                // 000000006898: 0A7CB55A
	v_mul_f32_e32 v63, v91, v91                                // 00000000689C: 0A7EB75B
	s_mov_b32 s3, 0xbd92220c                                   // 0000000068A0: BE8300FF BD92220C
	v_fma_f32 v60, v60, s3, v1                                 // 0000000068A8: D1CB003C 0404073C
	v_fma_f32 v61, v61, s3, v1                                 // 0000000068B0: D1CB003D 0404073D
	v_fma_f32 v62, v62, s3, v1                                 // 0000000068B8: D1CB003E 0404073E
	v_fma_f32 v63, v63, s3, v1                                 // 0000000068C0: D1CB003F 0404073F
	v_mul_f32_e32 v60, v60, v88                                // 0000000068C8: 0A78B13C
	v_mul_f32_e32 v61, v61, v89                                // 0000000068CC: 0A7AB33D
	v_mul_f32_e32 v62, v62, v90                                // 0000000068D0: 0A7CB53E
	v_mul_f32_e32 v63, v63, v91                                // 0000000068D4: 0A7EB73F
	v_mul_f32_e64 v60, v60, s6                                 // 0000000068D8: D105003C 00000D3C
	v_mul_f32_e64 v61, v61, s6                                 // 0000000068E0: D105003D 00000D3D
	v_mul_f32_e64 v62, v62, s6                                 // 0000000068E8: D105003E 00000D3E
	v_mul_f32_e64 v63, v63, s6                                 // 0000000068F0: D105003F 00000D3F
	v_exp_f32_e32 v60, v60                                     // 0000000068F8: 7E78413C
	v_exp_f32_e32 v61, v61                                     // 0000000068FC: 7E7A413D
	v_exp_f32_e32 v62, v62                                     // 000000006900: 7E7C413E
	v_exp_f32_e32 v63, v63                                     // 000000006904: 7E7E413F
	buffer_load_dwordx4 a[52:55], v52, s[12:15], 0 offen       // 000000006908: E05C1000 80833434
	v_add_f32_e64 v60, v60, 1.0                                // 000000006910: D101003C 0001E53C
	v_add_f32_e64 v61, v61, 1.0                                // 000000006918: D101003D 0001E53D
	v_add_f32_e64 v62, v62, 1.0                                // 000000006920: D101003E 0001E53E
	v_add_f32_e64 v63, v63, 1.0                                // 000000006928: D101003F 0001E53F
	v_rcp_f32_e32 v60, v60                                     // 000000006930: 7E78453C
	v_rcp_f32_e32 v61, v61                                     // 000000006934: 7E7A453D
	v_rcp_f32_e32 v62, v62                                     // 000000006938: 7E7C453E
	v_rcp_f32_e32 v63, v63                                     // 00000000693C: 7E7E453F
	v_mul_f32_e32 v88, v88, v60                                // 000000006940: 0AB07958
	v_mul_f32_e32 v89, v89, v61                                // 000000006944: 0AB27B59
	v_mul_f32_e32 v90, v90, v62                                // 000000006948: 0AB47D5A
	v_mul_f32_e32 v91, v91, v63                                // 00000000694C: 0AB67F5B
	v_mul_f32_e32 v88, v88, v152                               // 000000006950: 0AB13158
	v_mul_f32_e32 v89, v89, v153                               // 000000006954: 0AB33359
	v_mul_f32_e32 v90, v90, v154                               // 000000006958: 0AB5355A
	v_mul_f32_e32 v91, v91, v155                               // 00000000695C: 0AB7375B
	buffer_load_dwordx4 a[56:59], v53, s[12:15], 0 offen       // 000000006960: E05C1000 80833835
	v_mul_f32_e32 v60, v92, v92                                // 000000006968: 0A78B95C
	v_mul_f32_e32 v61, v93, v93                                // 00000000696C: 0A7ABB5D
	v_mul_f32_e32 v62, v94, v94                                // 000000006970: 0A7CBD5E
	v_mul_f32_e32 v63, v95, v95                                // 000000006974: 0A7EBF5F
	s_mov_b32 s3, 0xbd92220c                                   // 000000006978: BE8300FF BD92220C
	v_fma_f32 v60, v60, s3, v1                                 // 000000006980: D1CB003C 0404073C
	v_fma_f32 v61, v61, s3, v1                                 // 000000006988: D1CB003D 0404073D
	v_fma_f32 v62, v62, s3, v1                                 // 000000006990: D1CB003E 0404073E
	v_fma_f32 v63, v63, s3, v1                                 // 000000006998: D1CB003F 0404073F
	v_mul_f32_e32 v60, v60, v92                                // 0000000069A0: 0A78B93C
	v_mul_f32_e32 v61, v61, v93                                // 0000000069A4: 0A7ABB3D
	v_mul_f32_e32 v62, v62, v94                                // 0000000069A8: 0A7CBD3E
	v_mul_f32_e32 v63, v63, v95                                // 0000000069AC: 0A7EBF3F
	v_mul_f32_e64 v60, v60, s6                                 // 0000000069B0: D105003C 00000D3C
	v_mul_f32_e64 v61, v61, s6                                 // 0000000069B8: D105003D 00000D3D
	v_mul_f32_e64 v62, v62, s6                                 // 0000000069C0: D105003E 00000D3E
	v_mul_f32_e64 v63, v63, s6                                 // 0000000069C8: D105003F 00000D3F
	v_exp_f32_e32 v60, v60                                     // 0000000069D0: 7E78413C
	v_exp_f32_e32 v61, v61                                     // 0000000069D4: 7E7A413D
	v_exp_f32_e32 v62, v62                                     // 0000000069D8: 7E7C413E
	v_exp_f32_e32 v63, v63                                     // 0000000069DC: 7E7E413F
	buffer_load_dwordx4 a[60:63], v54, s[12:15], 0 offen       // 0000000069E0: E05C1000 80833C36
	v_add_f32_e64 v60, v60, 1.0                                // 0000000069E8: D101003C 0001E53C
	v_add_f32_e64 v61, v61, 1.0                                // 0000000069F0: D101003D 0001E53D
	v_add_f32_e64 v62, v62, 1.0                                // 0000000069F8: D101003E 0001E53E
	v_add_f32_e64 v63, v63, 1.0                                // 000000006A00: D101003F 0001E53F
	v_rcp_f32_e32 v60, v60                                     // 000000006A08: 7E78453C
	v_rcp_f32_e32 v61, v61                                     // 000000006A0C: 7E7A453D
	v_rcp_f32_e32 v62, v62                                     // 000000006A10: 7E7C453E
	v_rcp_f32_e32 v63, v63                                     // 000000006A14: 7E7E453F
	v_mul_f32_e32 v92, v92, v60                                // 000000006A18: 0AB8795C
	v_mul_f32_e32 v93, v93, v61                                // 000000006A1C: 0ABA7B5D
	v_mul_f32_e32 v94, v94, v62                                // 000000006A20: 0ABC7D5E
	v_mul_f32_e32 v95, v95, v63                                // 000000006A24: 0ABE7F5F
	v_mul_f32_e32 v92, v92, v156                               // 000000006A28: 0AB9395C
	v_mul_f32_e32 v93, v93, v157                               // 000000006A2C: 0ABB3B5D
	v_mul_f32_e32 v94, v94, v158                               // 000000006A30: 0ABD3D5E
	v_mul_f32_e32 v95, v95, v159                               // 000000006A34: 0ABF3F5F
	s_waitcnt vmcnt(12)                                        // 000000006A38: BF8C0F7C
	v_mul_f32_e32 v60, v96, v96                                // 000000006A3C: 0A78C160
	v_mul_f32_e32 v61, v97, v97                                // 000000006A40: 0A7AC361
	v_mul_f32_e32 v62, v98, v98                                // 000000006A44: 0A7CC562
	v_mul_f32_e32 v63, v99, v99                                // 000000006A48: 0A7EC763
	s_mov_b32 s3, 0xbd92220c                                   // 000000006A4C: BE8300FF BD92220C
	v_fma_f32 v60, v60, s3, v1                                 // 000000006A54: D1CB003C 0404073C
	v_fma_f32 v61, v61, s3, v1                                 // 000000006A5C: D1CB003D 0404073D
	v_fma_f32 v62, v62, s3, v1                                 // 000000006A64: D1CB003E 0404073E
	v_fma_f32 v63, v63, s3, v1                                 // 000000006A6C: D1CB003F 0404073F
	v_mul_f32_e32 v60, v60, v96                                // 000000006A74: 0A78C13C
	v_mul_f32_e32 v61, v61, v97                                // 000000006A78: 0A7AC33D
	v_mul_f32_e32 v62, v62, v98                                // 000000006A7C: 0A7CC53E
	v_mul_f32_e32 v63, v63, v99                                // 000000006A80: 0A7EC73F
	v_mul_f32_e64 v60, v60, s6                                 // 000000006A84: D105003C 00000D3C
	v_mul_f32_e64 v61, v61, s6                                 // 000000006A8C: D105003D 00000D3D
	v_mul_f32_e64 v62, v62, s6                                 // 000000006A94: D105003E 00000D3E
	v_mul_f32_e64 v63, v63, s6                                 // 000000006A9C: D105003F 00000D3F
	v_exp_f32_e32 v60, v60                                     // 000000006AA4: 7E78413C
	v_exp_f32_e32 v61, v61                                     // 000000006AA8: 7E7A413D
	v_exp_f32_e32 v62, v62                                     // 000000006AAC: 7E7C413E
	v_exp_f32_e32 v63, v63                                     // 000000006AB0: 7E7E413F
	v_add_f32_e64 v60, v60, 1.0                                // 000000006AB4: D101003C 0001E53C
	v_add_f32_e64 v61, v61, 1.0                                // 000000006ABC: D101003D 0001E53D
	v_add_f32_e64 v62, v62, 1.0                                // 000000006AC4: D101003E 0001E53E
	v_add_f32_e64 v63, v63, 1.0                                // 000000006ACC: D101003F 0001E53F
	v_rcp_f32_e32 v60, v60                                     // 000000006AD4: 7E78453C
	v_rcp_f32_e32 v61, v61                                     // 000000006AD8: 7E7A453D
	v_rcp_f32_e32 v62, v62                                     // 000000006ADC: 7E7C453E
	v_rcp_f32_e32 v63, v63                                     // 000000006AE0: 7E7E453F
	v_mul_f32_e32 v96, v96, v60                                // 000000006AE4: 0AC07960
	v_mul_f32_e32 v97, v97, v61                                // 000000006AE8: 0AC27B61
	v_mul_f32_e32 v98, v98, v62                                // 000000006AEC: 0AC47D62
	v_mul_f32_e32 v99, v99, v63                                // 000000006AF0: 0AC67F63
	v_mul_f32_e32 v96, v96, v160                               // 000000006AF4: 0AC14160
	v_mul_f32_e32 v97, v97, v161                               // 000000006AF8: 0AC34361
	v_mul_f32_e32 v98, v98, v162                               // 000000006AFC: 0AC54562
	v_mul_f32_e32 v99, v99, v163                               // 000000006B00: 0AC74763
	v_mul_f32_e32 v60, v100, v100                              // 000000006B04: 0A78C964
	v_mul_f32_e32 v61, v101, v101                              // 000000006B08: 0A7ACB65
	v_mul_f32_e32 v62, v102, v102                              // 000000006B0C: 0A7CCD66
	v_mul_f32_e32 v63, v103, v103                              // 000000006B10: 0A7ECF67
	s_mov_b32 s3, 0xbd92220c                                   // 000000006B14: BE8300FF BD92220C
	v_fma_f32 v60, v60, s3, v1                                 // 000000006B1C: D1CB003C 0404073C
	v_fma_f32 v61, v61, s3, v1                                 // 000000006B24: D1CB003D 0404073D
	v_fma_f32 v62, v62, s3, v1                                 // 000000006B2C: D1CB003E 0404073E
	v_fma_f32 v63, v63, s3, v1                                 // 000000006B34: D1CB003F 0404073F
	v_mul_f32_e32 v60, v60, v100                               // 000000006B3C: 0A78C93C
	v_mul_f32_e32 v61, v61, v101                               // 000000006B40: 0A7ACB3D
	v_mul_f32_e32 v62, v62, v102                               // 000000006B44: 0A7CCD3E
	v_mul_f32_e32 v63, v63, v103                               // 000000006B48: 0A7ECF3F
	v_mul_f32_e64 v60, v60, s6                                 // 000000006B4C: D105003C 00000D3C
	v_mul_f32_e64 v61, v61, s6                                 // 000000006B54: D105003D 00000D3D
	v_mul_f32_e64 v62, v62, s6                                 // 000000006B5C: D105003E 00000D3E
	v_mul_f32_e64 v63, v63, s6                                 // 000000006B64: D105003F 00000D3F
	v_exp_f32_e32 v60, v60                                     // 000000006B6C: 7E78413C
	v_exp_f32_e32 v61, v61                                     // 000000006B70: 7E7A413D
	v_exp_f32_e32 v62, v62                                     // 000000006B74: 7E7C413E
	v_exp_f32_e32 v63, v63                                     // 000000006B78: 7E7E413F
	v_add_f32_e64 v60, v60, 1.0                                // 000000006B7C: D101003C 0001E53C
	v_add_f32_e64 v61, v61, 1.0                                // 000000006B84: D101003D 0001E53D
	v_add_f32_e64 v62, v62, 1.0                                // 000000006B8C: D101003E 0001E53E
	v_add_f32_e64 v63, v63, 1.0                                // 000000006B94: D101003F 0001E53F
	v_rcp_f32_e32 v60, v60                                     // 000000006B9C: 7E78453C
	v_rcp_f32_e32 v61, v61                                     // 000000006BA0: 7E7A453D
	v_rcp_f32_e32 v62, v62                                     // 000000006BA4: 7E7C453E
	v_rcp_f32_e32 v63, v63                                     // 000000006BA8: 7E7E453F
	v_mul_f32_e32 v100, v100, v60                              // 000000006BAC: 0AC87964
	v_mul_f32_e32 v101, v101, v61                              // 000000006BB0: 0ACA7B65
	v_mul_f32_e32 v102, v102, v62                              // 000000006BB4: 0ACC7D66
	v_mul_f32_e32 v103, v103, v63                              // 000000006BB8: 0ACE7F67
	v_mul_f32_e32 v100, v100, v164                             // 000000006BBC: 0AC94964
	v_mul_f32_e32 v101, v101, v165                             // 000000006BC0: 0ACB4B65
	v_mul_f32_e32 v102, v102, v166                             // 000000006BC4: 0ACD4D66
	v_mul_f32_e32 v103, v103, v167                             // 000000006BC8: 0ACF4F67
	s_waitcnt vmcnt(12)                                        // 000000006BCC: BF8C0F7C
	v_mul_f32_e32 v60, v104, v104                              // 000000006BD0: 0A78D168
	v_mul_f32_e32 v61, v105, v105                              // 000000006BD4: 0A7AD369
	v_mul_f32_e32 v62, v106, v106                              // 000000006BD8: 0A7CD56A
	v_mul_f32_e32 v63, v107, v107                              // 000000006BDC: 0A7ED76B
	s_mov_b32 s3, 0xbd92220c                                   // 000000006BE0: BE8300FF BD92220C
	v_fma_f32 v60, v60, s3, v1                                 // 000000006BE8: D1CB003C 0404073C
	v_fma_f32 v61, v61, s3, v1                                 // 000000006BF0: D1CB003D 0404073D
	v_fma_f32 v62, v62, s3, v1                                 // 000000006BF8: D1CB003E 0404073E
	v_fma_f32 v63, v63, s3, v1                                 // 000000006C00: D1CB003F 0404073F
	v_mul_f32_e32 v60, v60, v104                               // 000000006C08: 0A78D13C
	v_mul_f32_e32 v61, v61, v105                               // 000000006C0C: 0A7AD33D
	v_mul_f32_e32 v62, v62, v106                               // 000000006C10: 0A7CD53E
	v_mul_f32_e32 v63, v63, v107                               // 000000006C14: 0A7ED73F
	v_mul_f32_e64 v60, v60, s6                                 // 000000006C18: D105003C 00000D3C
	v_mul_f32_e64 v61, v61, s6                                 // 000000006C20: D105003D 00000D3D
	v_mul_f32_e64 v62, v62, s6                                 // 000000006C28: D105003E 00000D3E
	v_mul_f32_e64 v63, v63, s6                                 // 000000006C30: D105003F 00000D3F
	v_exp_f32_e32 v60, v60                                     // 000000006C38: 7E78413C
	v_exp_f32_e32 v61, v61                                     // 000000006C3C: 7E7A413D
	v_exp_f32_e32 v62, v62                                     // 000000006C40: 7E7C413E
	v_exp_f32_e32 v63, v63                                     // 000000006C44: 7E7E413F
	v_add_f32_e64 v60, v60, 1.0                                // 000000006C48: D101003C 0001E53C
	v_add_f32_e64 v61, v61, 1.0                                // 000000006C50: D101003D 0001E53D
	v_add_f32_e64 v62, v62, 1.0                                // 000000006C58: D101003E 0001E53E
	v_add_f32_e64 v63, v63, 1.0                                // 000000006C60: D101003F 0001E53F
	v_rcp_f32_e32 v60, v60                                     // 000000006C68: 7E78453C
	v_rcp_f32_e32 v61, v61                                     // 000000006C6C: 7E7A453D
	v_rcp_f32_e32 v62, v62                                     // 000000006C70: 7E7C453E
	v_rcp_f32_e32 v63, v63                                     // 000000006C74: 7E7E453F
	v_mul_f32_e32 v104, v104, v60                              // 000000006C78: 0AD07968
	v_mul_f32_e32 v105, v105, v61                              // 000000006C7C: 0AD27B69
	v_mul_f32_e32 v106, v106, v62                              // 000000006C80: 0AD47D6A
	v_mul_f32_e32 v107, v107, v63                              // 000000006C84: 0AD67F6B
	v_mul_f32_e32 v104, v104, v168                             // 000000006C88: 0AD15168
	v_mul_f32_e32 v105, v105, v169                             // 000000006C8C: 0AD35369
	v_mul_f32_e32 v106, v106, v170                             // 000000006C90: 0AD5556A
	v_mul_f32_e32 v107, v107, v171                             // 000000006C94: 0AD7576B
	v_mul_f32_e32 v60, v108, v108                              // 000000006C98: 0A78D96C
	v_mul_f32_e32 v61, v109, v109                              // 000000006C9C: 0A7ADB6D
	v_mul_f32_e32 v62, v110, v110                              // 000000006CA0: 0A7CDD6E
	v_mul_f32_e32 v63, v111, v111                              // 000000006CA4: 0A7EDF6F
	s_mov_b32 s3, 0xbd92220c                                   // 000000006CA8: BE8300FF BD92220C
	v_fma_f32 v60, v60, s3, v1                                 // 000000006CB0: D1CB003C 0404073C
	v_fma_f32 v61, v61, s3, v1                                 // 000000006CB8: D1CB003D 0404073D
	v_fma_f32 v62, v62, s3, v1                                 // 000000006CC0: D1CB003E 0404073E
	v_fma_f32 v63, v63, s3, v1                                 // 000000006CC8: D1CB003F 0404073F
	v_mul_f32_e32 v60, v60, v108                               // 000000006CD0: 0A78D93C
	v_mul_f32_e32 v61, v61, v109                               // 000000006CD4: 0A7ADB3D
	v_mul_f32_e32 v62, v62, v110                               // 000000006CD8: 0A7CDD3E
	v_mul_f32_e32 v63, v63, v111                               // 000000006CDC: 0A7EDF3F
	v_mul_f32_e64 v60, v60, s6                                 // 000000006CE0: D105003C 00000D3C
	v_mul_f32_e64 v61, v61, s6                                 // 000000006CE8: D105003D 00000D3D
	v_mul_f32_e64 v62, v62, s6                                 // 000000006CF0: D105003E 00000D3E
	v_mul_f32_e64 v63, v63, s6                                 // 000000006CF8: D105003F 00000D3F
	v_exp_f32_e32 v60, v60                                     // 000000006D00: 7E78413C
	v_exp_f32_e32 v61, v61                                     // 000000006D04: 7E7A413D
	v_exp_f32_e32 v62, v62                                     // 000000006D08: 7E7C413E
	v_exp_f32_e32 v63, v63                                     // 000000006D0C: 7E7E413F
	v_add_f32_e64 v60, v60, 1.0                                // 000000006D10: D101003C 0001E53C
	v_add_f32_e64 v61, v61, 1.0                                // 000000006D18: D101003D 0001E53D
	v_add_f32_e64 v62, v62, 1.0                                // 000000006D20: D101003E 0001E53E
	v_add_f32_e64 v63, v63, 1.0                                // 000000006D28: D101003F 0001E53F
	v_rcp_f32_e32 v60, v60                                     // 000000006D30: 7E78453C
	v_rcp_f32_e32 v61, v61                                     // 000000006D34: 7E7A453D
	v_rcp_f32_e32 v62, v62                                     // 000000006D38: 7E7C453E
	v_rcp_f32_e32 v63, v63                                     // 000000006D3C: 7E7E453F
	v_mul_f32_e32 v108, v108, v60                              // 000000006D40: 0AD8796C
	v_mul_f32_e32 v109, v109, v61                              // 000000006D44: 0ADA7B6D
	v_mul_f32_e32 v110, v110, v62                              // 000000006D48: 0ADC7D6E
	v_mul_f32_e32 v111, v111, v63                              // 000000006D4C: 0ADE7F6F
	v_mul_f32_e32 v108, v108, v172                             // 000000006D50: 0AD9596C
	v_mul_f32_e32 v109, v109, v173                             // 000000006D54: 0ADB5B6D
	v_mul_f32_e32 v110, v110, v174                             // 000000006D58: 0ADD5D6E
	v_mul_f32_e32 v111, v111, v175                             // 000000006D5C: 0ADF5F6F
	s_waitcnt vmcnt(12)                                        // 000000006D60: BF8C0F7C
	v_mul_f32_e32 v60, v112, v112                              // 000000006D64: 0A78E170
	v_mul_f32_e32 v61, v113, v113                              // 000000006D68: 0A7AE371
	v_mul_f32_e32 v62, v114, v114                              // 000000006D6C: 0A7CE572
	v_mul_f32_e32 v63, v115, v115                              // 000000006D70: 0A7EE773
	s_mov_b32 s3, 0xbd92220c                                   // 000000006D74: BE8300FF BD92220C
	v_fma_f32 v60, v60, s3, v1                                 // 000000006D7C: D1CB003C 0404073C
	v_fma_f32 v61, v61, s3, v1                                 // 000000006D84: D1CB003D 0404073D
	v_fma_f32 v62, v62, s3, v1                                 // 000000006D8C: D1CB003E 0404073E
	v_fma_f32 v63, v63, s3, v1                                 // 000000006D94: D1CB003F 0404073F
	v_mul_f32_e32 v60, v60, v112                               // 000000006D9C: 0A78E13C
	v_mul_f32_e32 v61, v61, v113                               // 000000006DA0: 0A7AE33D
	v_mul_f32_e32 v62, v62, v114                               // 000000006DA4: 0A7CE53E
	v_mul_f32_e32 v63, v63, v115                               // 000000006DA8: 0A7EE73F
	v_mul_f32_e64 v60, v60, s6                                 // 000000006DAC: D105003C 00000D3C
	v_mul_f32_e64 v61, v61, s6                                 // 000000006DB4: D105003D 00000D3D
	v_mul_f32_e64 v62, v62, s6                                 // 000000006DBC: D105003E 00000D3E
	v_mul_f32_e64 v63, v63, s6                                 // 000000006DC4: D105003F 00000D3F
	v_exp_f32_e32 v60, v60                                     // 000000006DCC: 7E78413C
	v_exp_f32_e32 v61, v61                                     // 000000006DD0: 7E7A413D
	v_exp_f32_e32 v62, v62                                     // 000000006DD4: 7E7C413E
	v_exp_f32_e32 v63, v63                                     // 000000006DD8: 7E7E413F
	v_add_f32_e64 v60, v60, 1.0                                // 000000006DDC: D101003C 0001E53C
	v_add_f32_e64 v61, v61, 1.0                                // 000000006DE4: D101003D 0001E53D
	v_add_f32_e64 v62, v62, 1.0                                // 000000006DEC: D101003E 0001E53E
	v_add_f32_e64 v63, v63, 1.0                                // 000000006DF4: D101003F 0001E53F
	v_rcp_f32_e32 v60, v60                                     // 000000006DFC: 7E78453C
	v_rcp_f32_e32 v61, v61                                     // 000000006E00: 7E7A453D
	v_rcp_f32_e32 v62, v62                                     // 000000006E04: 7E7C453E
	v_rcp_f32_e32 v63, v63                                     // 000000006E08: 7E7E453F
	v_mul_f32_e32 v112, v112, v60                              // 000000006E0C: 0AE07970
	v_mul_f32_e32 v113, v113, v61                              // 000000006E10: 0AE27B71
	v_mul_f32_e32 v114, v114, v62                              // 000000006E14: 0AE47D72
	v_mul_f32_e32 v115, v115, v63                              // 000000006E18: 0AE67F73
	v_mul_f32_e32 v112, v112, v176                             // 000000006E1C: 0AE16170
	v_mul_f32_e32 v113, v113, v177                             // 000000006E20: 0AE36371
	v_mul_f32_e32 v114, v114, v178                             // 000000006E24: 0AE56572
	v_mul_f32_e32 v115, v115, v179                             // 000000006E28: 0AE76773
	v_mul_f32_e32 v60, v116, v116                              // 000000006E2C: 0A78E974
	v_mul_f32_e32 v61, v117, v117                              // 000000006E30: 0A7AEB75
	v_mul_f32_e32 v62, v118, v118                              // 000000006E34: 0A7CED76
	v_mul_f32_e32 v63, v119, v119                              // 000000006E38: 0A7EEF77
	s_mov_b32 s3, 0xbd92220c                                   // 000000006E3C: BE8300FF BD92220C
	v_fma_f32 v60, v60, s3, v1                                 // 000000006E44: D1CB003C 0404073C
	v_fma_f32 v61, v61, s3, v1                                 // 000000006E4C: D1CB003D 0404073D
	v_fma_f32 v62, v62, s3, v1                                 // 000000006E54: D1CB003E 0404073E
	v_fma_f32 v63, v63, s3, v1                                 // 000000006E5C: D1CB003F 0404073F
	v_mul_f32_e32 v60, v60, v116                               // 000000006E64: 0A78E93C
	v_mul_f32_e32 v61, v61, v117                               // 000000006E68: 0A7AEB3D
	v_mul_f32_e32 v62, v62, v118                               // 000000006E6C: 0A7CED3E
	v_mul_f32_e32 v63, v63, v119                               // 000000006E70: 0A7EEF3F
	v_mul_f32_e64 v60, v60, s6                                 // 000000006E74: D105003C 00000D3C
	v_mul_f32_e64 v61, v61, s6                                 // 000000006E7C: D105003D 00000D3D
	v_mul_f32_e64 v62, v62, s6                                 // 000000006E84: D105003E 00000D3E
	v_mul_f32_e64 v63, v63, s6                                 // 000000006E8C: D105003F 00000D3F
	v_exp_f32_e32 v60, v60                                     // 000000006E94: 7E78413C
	v_exp_f32_e32 v61, v61                                     // 000000006E98: 7E7A413D
	v_exp_f32_e32 v62, v62                                     // 000000006E9C: 7E7C413E
	v_exp_f32_e32 v63, v63                                     // 000000006EA0: 7E7E413F
	v_add_f32_e64 v60, v60, 1.0                                // 000000006EA4: D101003C 0001E53C
	v_add_f32_e64 v61, v61, 1.0                                // 000000006EAC: D101003D 0001E53D
	v_add_f32_e64 v62, v62, 1.0                                // 000000006EB4: D101003E 0001E53E
	v_add_f32_e64 v63, v63, 1.0                                // 000000006EBC: D101003F 0001E53F
	v_rcp_f32_e32 v60, v60                                     // 000000006EC4: 7E78453C
	v_rcp_f32_e32 v61, v61                                     // 000000006EC8: 7E7A453D
	v_rcp_f32_e32 v62, v62                                     // 000000006ECC: 7E7C453E
	v_rcp_f32_e32 v63, v63                                     // 000000006ED0: 7E7E453F
	v_mul_f32_e32 v116, v116, v60                              // 000000006ED4: 0AE87974
	v_mul_f32_e32 v117, v117, v61                              // 000000006ED8: 0AEA7B75
	v_mul_f32_e32 v118, v118, v62                              // 000000006EDC: 0AEC7D76
	v_mul_f32_e32 v119, v119, v63                              // 000000006EE0: 0AEE7F77
	v_mul_f32_e32 v116, v116, v180                             // 000000006EE4: 0AE96974
	v_mul_f32_e32 v117, v117, v181                             // 000000006EE8: 0AEB6B75
	v_mul_f32_e32 v118, v118, v182                             // 000000006EEC: 0AED6D76
	v_mul_f32_e32 v119, v119, v183                             // 000000006EF0: 0AEF6F77
	s_waitcnt vmcnt(12)                                        // 000000006EF4: BF8C0F7C
	v_mul_f32_e32 v60, v120, v120                              // 000000006EF8: 0A78F178
	v_mul_f32_e32 v61, v121, v121                              // 000000006EFC: 0A7AF379
	v_mul_f32_e32 v62, v122, v122                              // 000000006F00: 0A7CF57A
	v_mul_f32_e32 v63, v123, v123                              // 000000006F04: 0A7EF77B
	s_mov_b32 s3, 0xbd92220c                                   // 000000006F08: BE8300FF BD92220C
	v_fma_f32 v60, v60, s3, v1                                 // 000000006F10: D1CB003C 0404073C
	v_fma_f32 v61, v61, s3, v1                                 // 000000006F18: D1CB003D 0404073D
	v_fma_f32 v62, v62, s3, v1                                 // 000000006F20: D1CB003E 0404073E
	v_fma_f32 v63, v63, s3, v1                                 // 000000006F28: D1CB003F 0404073F
	v_mul_f32_e32 v60, v60, v120                               // 000000006F30: 0A78F13C
	v_mul_f32_e32 v61, v61, v121                               // 000000006F34: 0A7AF33D
	v_mul_f32_e32 v62, v62, v122                               // 000000006F38: 0A7CF53E
	v_mul_f32_e32 v63, v63, v123                               // 000000006F3C: 0A7EF73F
	v_mul_f32_e64 v60, v60, s6                                 // 000000006F40: D105003C 00000D3C
	v_mul_f32_e64 v61, v61, s6                                 // 000000006F48: D105003D 00000D3D
	v_mul_f32_e64 v62, v62, s6                                 // 000000006F50: D105003E 00000D3E
	v_mul_f32_e64 v63, v63, s6                                 // 000000006F58: D105003F 00000D3F
	v_exp_f32_e32 v60, v60                                     // 000000006F60: 7E78413C
	v_exp_f32_e32 v61, v61                                     // 000000006F64: 7E7A413D
	v_exp_f32_e32 v62, v62                                     // 000000006F68: 7E7C413E
	v_exp_f32_e32 v63, v63                                     // 000000006F6C: 7E7E413F
	v_add_f32_e64 v60, v60, 1.0                                // 000000006F70: D101003C 0001E53C
	v_add_f32_e64 v61, v61, 1.0                                // 000000006F78: D101003D 0001E53D
	v_add_f32_e64 v62, v62, 1.0                                // 000000006F80: D101003E 0001E53E
	v_add_f32_e64 v63, v63, 1.0                                // 000000006F88: D101003F 0001E53F
	v_rcp_f32_e32 v60, v60                                     // 000000006F90: 7E78453C
	v_rcp_f32_e32 v61, v61                                     // 000000006F94: 7E7A453D
	v_rcp_f32_e32 v62, v62                                     // 000000006F98: 7E7C453E
	v_rcp_f32_e32 v63, v63                                     // 000000006F9C: 7E7E453F
	v_mul_f32_e32 v120, v120, v60                              // 000000006FA0: 0AF07978
	v_mul_f32_e32 v121, v121, v61                              // 000000006FA4: 0AF27B79
	v_mul_f32_e32 v122, v122, v62                              // 000000006FA8: 0AF47D7A
	v_mul_f32_e32 v123, v123, v63                              // 000000006FAC: 0AF67F7B
	v_mul_f32_e32 v120, v120, v184                             // 000000006FB0: 0AF17178
	v_mul_f32_e32 v121, v121, v185                             // 000000006FB4: 0AF37379
	v_mul_f32_e32 v122, v122, v186                             // 000000006FB8: 0AF5757A
	v_mul_f32_e32 v123, v123, v187                             // 000000006FBC: 0AF7777B
	v_mul_f32_e32 v60, v124, v124                              // 000000006FC0: 0A78F97C
	v_mul_f32_e32 v61, v125, v125                              // 000000006FC4: 0A7AFB7D
	v_mul_f32_e32 v62, v126, v126                              // 000000006FC8: 0A7CFD7E
	v_mul_f32_e32 v63, v127, v127                              // 000000006FCC: 0A7EFF7F
	s_mov_b32 s3, 0xbd92220c                                   // 000000006FD0: BE8300FF BD92220C
	v_fma_f32 v60, v60, s3, v1                                 // 000000006FD8: D1CB003C 0404073C
	v_fma_f32 v61, v61, s3, v1                                 // 000000006FE0: D1CB003D 0404073D
	v_fma_f32 v62, v62, s3, v1                                 // 000000006FE8: D1CB003E 0404073E
	v_fma_f32 v63, v63, s3, v1                                 // 000000006FF0: D1CB003F 0404073F
	v_mul_f32_e32 v60, v60, v124                               // 000000006FF8: 0A78F93C
	v_mul_f32_e32 v61, v61, v125                               // 000000006FFC: 0A7AFB3D
	v_mul_f32_e32 v62, v62, v126                               // 000000007000: 0A7CFD3E
	v_mul_f32_e32 v63, v63, v127                               // 000000007004: 0A7EFF3F
	v_mul_f32_e64 v60, v60, s6                                 // 000000007008: D105003C 00000D3C
	v_mul_f32_e64 v61, v61, s6                                 // 000000007010: D105003D 00000D3D
	v_mul_f32_e64 v62, v62, s6                                 // 000000007018: D105003E 00000D3E
	v_mul_f32_e64 v63, v63, s6                                 // 000000007020: D105003F 00000D3F
	v_exp_f32_e32 v60, v60                                     // 000000007028: 7E78413C
	v_exp_f32_e32 v61, v61                                     // 00000000702C: 7E7A413D
	v_exp_f32_e32 v62, v62                                     // 000000007030: 7E7C413E
	v_exp_f32_e32 v63, v63                                     // 000000007034: 7E7E413F
	v_add_f32_e64 v60, v60, 1.0                                // 000000007038: D101003C 0001E53C
	v_add_f32_e64 v61, v61, 1.0                                // 000000007040: D101003D 0001E53D
	v_add_f32_e64 v62, v62, 1.0                                // 000000007048: D101003E 0001E53E
	v_add_f32_e64 v63, v63, 1.0                                // 000000007050: D101003F 0001E53F
	v_rcp_f32_e32 v60, v60                                     // 000000007058: 7E78453C
	v_rcp_f32_e32 v61, v61                                     // 00000000705C: 7E7A453D
	v_rcp_f32_e32 v62, v62                                     // 000000007060: 7E7C453E
	v_rcp_f32_e32 v63, v63                                     // 000000007064: 7E7E453F
	v_mul_f32_e32 v124, v124, v60                              // 000000007068: 0AF8797C
	v_mul_f32_e32 v125, v125, v61                              // 00000000706C: 0AFA7B7D
	v_mul_f32_e32 v126, v126, v62                              // 000000007070: 0AFC7D7E
	v_mul_f32_e32 v127, v127, v63                              // 000000007074: 0AFE7F7F
	v_mul_f32_e32 v124, v124, v188                             // 000000007078: 0AF9797C
	v_mul_f32_e32 v125, v125, v189                             // 00000000707C: 0AFB7B7D
	v_mul_f32_e32 v126, v126, v190                             // 000000007080: 0AFD7D7E
	v_mul_f32_e32 v127, v127, v191                             // 000000007084: 0AFF7F7F
	buffer_load_dword v37, v8, s[16:19], 0 offen               // 000000007088: E0501000 80042508
	v_mov_b32_e32 v192, 0x358637bd                             // 000000007090: 7F8002FF 358637BD
	v_mov_b32_e32 v193, 0x358637bd                             // 000000007098: 7F8202FF 358637BD
	v_mov_b32_e32 v194, 0x358637bd                             // 0000000070A0: 7F8402FF 358637BD
	v_mov_b32_e32 v195, 0x358637bd                             // 0000000070A8: 7F8602FF 358637BD
	v_max3_f32 v192, |v64|, |v65|, v192                        // 0000000070B0: D1D303C0 07028340
	v_max3_f32 v192, |v66|, |v67|, v192                        // 0000000070B8: D1D303C0 07028742
	v_max3_f32 v193, |v68|, |v69|, v193                        // 0000000070C0: D1D303C1 07068B44
	v_max3_f32 v193, |v70|, |v71|, v193                        // 0000000070C8: D1D303C1 07068F46
	v_max3_f32 v194, |v72|, |v73|, v194                        // 0000000070D0: D1D303C2 070A9348
	v_max3_f32 v194, |v74|, |v75|, v194                        // 0000000070D8: D1D303C2 070A974A
	v_max3_f32 v195, |v76|, |v77|, v195                        // 0000000070E0: D1D303C3 070E9B4C
	v_max3_f32 v195, |v78|, |v79|, v195                        // 0000000070E8: D1D303C3 070E9F4E
	v_max3_f32 v192, |v80|, |v81|, v192                        // 0000000070F0: D1D303C0 0702A350
	v_max3_f32 v192, |v82|, |v83|, v192                        // 0000000070F8: D1D303C0 0702A752
	v_max3_f32 v193, |v84|, |v85|, v193                        // 000000007100: D1D303C1 0706AB54
	v_max3_f32 v193, |v86|, |v87|, v193                        // 000000007108: D1D303C1 0706AF56
	v_max3_f32 v194, |v88|, |v89|, v194                        // 000000007110: D1D303C2 070AB358
	v_max3_f32 v194, |v90|, |v91|, v194                        // 000000007118: D1D303C2 070AB75A
	v_max3_f32 v195, |v92|, |v93|, v195                        // 000000007120: D1D303C3 070EBB5C
	v_max3_f32 v195, |v94|, |v95|, v195                        // 000000007128: D1D303C3 070EBF5E
	v_xor_b32_e32 v60, 32, v0                                  // 000000007130: 2A7800A0
	v_lshlrev_b32_e32 v60, 2, v60                              // 000000007134: 24787882
	s_nop 1                                                    // 000000007138: BF800001
	ds_bpermute_b32 v60, v60, v192                             // 00000000713C: D87E0000 3C00C03C
	s_waitcnt lgkmcnt(0)                                       // 000000007144: BF8CC07F
	v_max_f32_e32 v192, v60, v192                              // 000000007148: 1781813C
	v_xor_b32_e32 v60, 16, v0                                  // 00000000714C: 2A780090
	v_lshlrev_b32_e32 v60, 2, v60                              // 000000007150: 24787882
	s_nop 1                                                    // 000000007154: BF800001
	ds_bpermute_b32 v60, v60, v192                             // 000000007158: D87E0000 3C00C03C
	s_waitcnt lgkmcnt(0)                                       // 000000007160: BF8CC07F
	v_max_f32_e32 v192, v60, v192                              // 000000007164: 1781813C
	v_xor_b32_e32 v60, 32, v0                                  // 000000007168: 2A7800A0
	v_lshlrev_b32_e32 v60, 2, v60                              // 00000000716C: 24787882
	s_nop 1                                                    // 000000007170: BF800001
	ds_bpermute_b32 v60, v60, v193                             // 000000007174: D87E0000 3C00C13C
	s_waitcnt lgkmcnt(0)                                       // 00000000717C: BF8CC07F
	v_max_f32_e32 v193, v60, v193                              // 000000007180: 1783833C
	v_xor_b32_e32 v60, 16, v0                                  // 000000007184: 2A780090
	v_lshlrev_b32_e32 v60, 2, v60                              // 000000007188: 24787882
	s_nop 1                                                    // 00000000718C: BF800001
	ds_bpermute_b32 v60, v60, v193                             // 000000007190: D87E0000 3C00C13C
	s_waitcnt lgkmcnt(0)                                       // 000000007198: BF8CC07F
	v_max_f32_e32 v193, v60, v193                              // 00000000719C: 1783833C
	v_xor_b32_e32 v60, 32, v0                                  // 0000000071A0: 2A7800A0
	v_lshlrev_b32_e32 v60, 2, v60                              // 0000000071A4: 24787882
	s_nop 1                                                    // 0000000071A8: BF800001
	ds_bpermute_b32 v60, v60, v194                             // 0000000071AC: D87E0000 3C00C23C
	s_waitcnt lgkmcnt(0)                                       // 0000000071B4: BF8CC07F
	v_max_f32_e32 v194, v60, v194                              // 0000000071B8: 1785853C
	v_xor_b32_e32 v60, 16, v0                                  // 0000000071BC: 2A780090
	v_lshlrev_b32_e32 v60, 2, v60                              // 0000000071C0: 24787882
	s_nop 1                                                    // 0000000071C4: BF800001
	ds_bpermute_b32 v60, v60, v194                             // 0000000071C8: D87E0000 3C00C23C
	s_waitcnt lgkmcnt(0)                                       // 0000000071D0: BF8CC07F
	v_max_f32_e32 v194, v60, v194                              // 0000000071D4: 1785853C
	v_xor_b32_e32 v60, 32, v0                                  // 0000000071D8: 2A7800A0
	v_lshlrev_b32_e32 v60, 2, v60                              // 0000000071DC: 24787882
	s_nop 1                                                    // 0000000071E0: BF800001
	ds_bpermute_b32 v60, v60, v195                             // 0000000071E4: D87E0000 3C00C33C
	s_waitcnt lgkmcnt(0)                                       // 0000000071EC: BF8CC07F
	v_max_f32_e32 v195, v60, v195                              // 0000000071F0: 1787873C
	v_xor_b32_e32 v60, 16, v0                                  // 0000000071F4: 2A780090
	v_lshlrev_b32_e32 v60, 2, v60                              // 0000000071F8: 24787882
	s_nop 1                                                    // 0000000071FC: BF800001
	ds_bpermute_b32 v60, v60, v195                             // 000000007200: D87E0000 3C00C33C
	s_waitcnt lgkmcnt(0)                                       // 000000007208: BF8CC07F
	v_max_f32_e32 v195, v60, v195                              // 00000000720C: 1787873C
	v_lshlrev_b32_e32 v60, 2, v0                               // 000000007210: 24780082
	s_mul_i32 s56, 64, s7                                      // 000000007214: 923807C0
	v_add_u32_e32 v60, s56, v60                                // 000000007218: 68787838
	s_mov_b32 s56, 0xffff                                      // 00000000721C: BEB800FF 0000FFFF
	s_mov_b32 s57, 0                                           // 000000007224: BEB90080
	s_mov_b64 exec, s[56:57]                                   // 000000007228: BEFE0138
	ds_write_b32 v60, v192 offset:37120                        // 00000000722C: D81A9100 0000C03C
	ds_write_b32 v60, v193 offset:37376                        // 000000007234: D81A9200 0000C13C
	ds_write_b32 v60, v194 offset:37632                        // 00000000723C: D81A9300 0000C23C
	ds_write_b32 v60, v195 offset:37888                        // 000000007244: D81A9400 0000C33C
	s_mov_b32 s56, -1                                          // 00000000724C: BEB800C1
	s_mov_b32 s57, -1                                          // 000000007250: BEB900C1
	s_mov_b64 exec, s[56:57]                                   // 000000007254: BEFE0138
	s_waitcnt lgkmcnt(0)                                       // 000000007258: BF8CC07F
	s_barrier                                                  // 00000000725C: BF8A0000
	v_lshlrev_b32_e32 v60, 2, v0                               // 000000007260: 24780082
	ds_read_b32 v252, v60 offset:37120                         // 000000007264: D86C9100 FC00003C
	ds_read_b32 v253, v60 offset:37376                         // 00000000726C: D86C9200 FD00003C
	ds_read_b32 v254, v60 offset:37632                         // 000000007274: D86C9300 FE00003C
	ds_read_b32 v255, v60 offset:37888                         // 00000000727C: D86C9400 FF00003C
	s_waitcnt lgkmcnt(0)                                       // 000000007284: BF8CC07F
	v_xor_b32_e32 v60, 32, v0                                  // 000000007288: 2A7800A0
	v_lshlrev_b32_e32 v60, 2, v60                              // 00000000728C: 24787882
	s_nop 1                                                    // 000000007290: BF800001
	ds_bpermute_b32 v60, v60, v252                             // 000000007294: D87E0000 3C00FC3C
	s_waitcnt lgkmcnt(0)                                       // 00000000729C: BF8CC07F
	v_max_f32_e32 v252, v60, v252                              // 0000000072A0: 17F9F93C
	v_xor_b32_e32 v60, 16, v0                                  // 0000000072A4: 2A780090
	v_lshlrev_b32_e32 v60, 2, v60                              // 0000000072A8: 24787882
	s_nop 1                                                    // 0000000072AC: BF800001
	ds_bpermute_b32 v60, v60, v252                             // 0000000072B0: D87E0000 3C00FC3C
	s_waitcnt lgkmcnt(0)                                       // 0000000072B8: BF8CC07F
	v_max_f32_e32 v252, v60, v252                              // 0000000072BC: 17F9F93C
	v_xor_b32_e32 v60, 32, v0                                  // 0000000072C0: 2A7800A0
	v_lshlrev_b32_e32 v60, 2, v60                              // 0000000072C4: 24787882
	s_nop 1                                                    // 0000000072C8: BF800001
	ds_bpermute_b32 v60, v60, v253                             // 0000000072CC: D87E0000 3C00FD3C
	s_waitcnt lgkmcnt(0)                                       // 0000000072D4: BF8CC07F
	v_max_f32_e32 v253, v60, v253                              // 0000000072D8: 17FBFB3C
	v_xor_b32_e32 v60, 16, v0                                  // 0000000072DC: 2A780090
	v_lshlrev_b32_e32 v60, 2, v60                              // 0000000072E0: 24787882
	s_nop 1                                                    // 0000000072E4: BF800001
	ds_bpermute_b32 v60, v60, v253                             // 0000000072E8: D87E0000 3C00FD3C
	s_waitcnt lgkmcnt(0)                                       // 0000000072F0: BF8CC07F
	v_max_f32_e32 v253, v60, v253                              // 0000000072F4: 17FBFB3C
	v_xor_b32_e32 v60, 32, v0                                  // 0000000072F8: 2A7800A0
	v_lshlrev_b32_e32 v60, 2, v60                              // 0000000072FC: 24787882
	s_nop 1                                                    // 000000007300: BF800001
	ds_bpermute_b32 v60, v60, v254                             // 000000007304: D87E0000 3C00FE3C
	s_waitcnt lgkmcnt(0)                                       // 00000000730C: BF8CC07F
	v_max_f32_e32 v254, v60, v254                              // 000000007310: 17FDFD3C
	v_xor_b32_e32 v60, 16, v0                                  // 000000007314: 2A780090
	v_lshlrev_b32_e32 v60, 2, v60                              // 000000007318: 24787882
	s_nop 1                                                    // 00000000731C: BF800001
	ds_bpermute_b32 v60, v60, v254                             // 000000007320: D87E0000 3C00FE3C
	s_waitcnt lgkmcnt(0)                                       // 000000007328: BF8CC07F
	v_max_f32_e32 v254, v60, v254                              // 00000000732C: 17FDFD3C
	v_xor_b32_e32 v60, 32, v0                                  // 000000007330: 2A7800A0
	v_lshlrev_b32_e32 v60, 2, v60                              // 000000007334: 24787882
	s_nop 1                                                    // 000000007338: BF800001
	ds_bpermute_b32 v60, v60, v255                             // 00000000733C: D87E0000 3C00FF3C
	s_waitcnt lgkmcnt(0)                                       // 000000007344: BF8CC07F
	v_max_f32_e32 v255, v60, v255                              // 000000007348: 17FFFF3C
	v_xor_b32_e32 v60, 16, v0                                  // 00000000734C: 2A780090
	v_lshlrev_b32_e32 v60, 2, v60                              // 000000007350: 24787882
	s_nop 1                                                    // 000000007354: BF800001
	ds_bpermute_b32 v60, v60, v255                             // 000000007358: D87E0000 3C00FF3C
	s_waitcnt lgkmcnt(0)                                       // 000000007360: BF8CC07F
	v_max_f32_e32 v255, v60, v255                              // 000000007364: 17FFFF3C
	v_max_f32_e32 v192, v252, v192                             // 000000007368: 178181FC
	v_max_f32_e32 v193, v253, v193                             // 00000000736C: 178383FD
	v_max_f32_e32 v194, v254, v194                             // 000000007370: 178585FE
	v_max_f32_e32 v195, v255, v195                             // 000000007374: 178787FF
	v_rcp_f32_e32 v192, v192                                   // 000000007378: 7F8045C0
	v_rcp_f32_e32 v193, v193                                   // 00000000737C: 7F8245C1
	v_rcp_f32_e32 v194, v194                                   // 000000007380: 7F8445C2
	v_rcp_f32_e32 v195, v195                                   // 000000007384: 7F8645C3
	v_mov_b32_e32 v60, 0x43700000                              // 000000007388: 7E7802FF 43700000
	v_mul_f32_e32 v192, v60, v192                              // 000000007390: 0B81813C
	v_mul_f32_e32 v193, v60, v193                              // 000000007394: 0B83833C
	v_mul_f32_e32 v194, v60, v194                              // 000000007398: 0B85853C
	v_mul_f32_e32 v195, v60, v195                              // 00000000739C: 0B87873C
	v_mul_f32_e32 v64, v192, v64                               // 0000000073A0: 0A8081C0
	v_mul_f32_e32 v65, v192, v65                               // 0000000073A4: 0A8283C0
	v_mul_f32_e32 v66, v192, v66                               // 0000000073A8: 0A8485C0
	v_mul_f32_e32 v67, v192, v67                               // 0000000073AC: 0A8687C0
	v_cvt_pk_fp8_f32 v64, v64, v65                             // 0000000073B0: D2A20040 00028340
	v_cvt_pk_fp8_f32 v64, v66, v67 op_sel:[0,0,1]              // 0000000073B8: D2A24040 00028742
	v_mul_f32_e32 v68, v193, v68                               // 0000000073C0: 0A8889C1
	v_mul_f32_e32 v69, v193, v69                               // 0000000073C4: 0A8A8BC1
	v_mul_f32_e32 v70, v193, v70                               // 0000000073C8: 0A8C8DC1
	v_mul_f32_e32 v71, v193, v71                               // 0000000073CC: 0A8E8FC1
	v_cvt_pk_fp8_f32 v65, v68, v69                             // 0000000073D0: D2A20041 00028B44
	v_cvt_pk_fp8_f32 v65, v70, v71 op_sel:[0,0,1]              // 0000000073D8: D2A24041 00028F46
	v_mul_f32_e32 v72, v194, v72                               // 0000000073E0: 0A9091C2
	v_mul_f32_e32 v73, v194, v73                               // 0000000073E4: 0A9293C2
	v_mul_f32_e32 v74, v194, v74                               // 0000000073E8: 0A9495C2
	v_mul_f32_e32 v75, v194, v75                               // 0000000073EC: 0A9697C2
	v_cvt_pk_fp8_f32 v66, v72, v73                             // 0000000073F0: D2A20042 00029348
	v_cvt_pk_fp8_f32 v66, v74, v75 op_sel:[0,0,1]              // 0000000073F8: D2A24042 0002974A
	v_mul_f32_e32 v76, v195, v76                               // 000000007400: 0A9899C3
	v_mul_f32_e32 v77, v195, v77                               // 000000007404: 0A9A9BC3
	v_mul_f32_e32 v78, v195, v78                               // 000000007408: 0A9C9DC3
	v_mul_f32_e32 v79, v195, v79                               // 00000000740C: 0A9E9FC3
	v_cvt_pk_fp8_f32 v67, v76, v77                             // 000000007410: D2A20043 00029B4C
	v_cvt_pk_fp8_f32 v67, v78, v79 op_sel:[0,0,1]              // 000000007418: D2A24043 00029F4E
	v_mul_f32_e32 v80, v192, v80                               // 000000007420: 0AA0A1C0
	v_mul_f32_e32 v81, v192, v81                               // 000000007424: 0AA2A3C0
	v_mul_f32_e32 v82, v192, v82                               // 000000007428: 0AA4A5C0
	v_mul_f32_e32 v83, v192, v83                               // 00000000742C: 0AA6A7C0
	v_cvt_pk_fp8_f32 v68, v80, v81                             // 000000007430: D2A20044 0002A350
	v_cvt_pk_fp8_f32 v68, v82, v83 op_sel:[0,0,1]              // 000000007438: D2A24044 0002A752
	v_mul_f32_e32 v84, v193, v84                               // 000000007440: 0AA8A9C1
	v_mul_f32_e32 v85, v193, v85                               // 000000007444: 0AAAABC1
	v_mul_f32_e32 v86, v193, v86                               // 000000007448: 0AACADC1
	v_mul_f32_e32 v87, v193, v87                               // 00000000744C: 0AAEAFC1
	v_cvt_pk_fp8_f32 v69, v84, v85                             // 000000007450: D2A20045 0002AB54
	v_cvt_pk_fp8_f32 v69, v86, v87 op_sel:[0,0,1]              // 000000007458: D2A24045 0002AF56
	v_mul_f32_e32 v88, v194, v88                               // 000000007460: 0AB0B1C2
	v_mul_f32_e32 v89, v194, v89                               // 000000007464: 0AB2B3C2
	v_mul_f32_e32 v90, v194, v90                               // 000000007468: 0AB4B5C2
	v_mul_f32_e32 v91, v194, v91                               // 00000000746C: 0AB6B7C2
	v_cvt_pk_fp8_f32 v70, v88, v89                             // 000000007470: D2A20046 0002B358
	v_cvt_pk_fp8_f32 v70, v90, v91 op_sel:[0,0,1]              // 000000007478: D2A24046 0002B75A
	v_mul_f32_e32 v92, v195, v92                               // 000000007480: 0AB8B9C3
	v_mul_f32_e32 v93, v195, v93                               // 000000007484: 0ABABBC3
	v_mul_f32_e32 v94, v195, v94                               // 000000007488: 0ABCBDC3
	v_mul_f32_e32 v95, v195, v95                               // 00000000748C: 0ABEBFC3
	v_cvt_pk_fp8_f32 v71, v92, v93                             // 000000007490: D2A20047 0002BB5C
	v_cvt_pk_fp8_f32 v71, v94, v95 op_sel:[0,0,1]              // 000000007498: D2A24047 0002BF5E
	v_rcp_f32_e32 v21, v192                                    // 0000000074A0: 7E2A45C0
	v_rcp_f32_e32 v22, v193                                    // 0000000074A4: 7E2C45C1
	v_rcp_f32_e32 v23, v194                                    // 0000000074A8: 7E2E45C2
	v_rcp_f32_e32 v24, v195                                    // 0000000074AC: 7E3045C3
	v_mov_b32_e32 v196, 0x358637bd                             // 0000000074B0: 7F8802FF 358637BD
	v_mov_b32_e32 v197, 0x358637bd                             // 0000000074B8: 7F8A02FF 358637BD
	v_mov_b32_e32 v198, 0x358637bd                             // 0000000074C0: 7F8C02FF 358637BD
	v_mov_b32_e32 v199, 0x358637bd                             // 0000000074C8: 7F8E02FF 358637BD
	v_max3_f32 v196, |v96|, |v97|, v196                        // 0000000074D0: D1D303C4 0712C360
	v_max3_f32 v196, |v98|, |v99|, v196                        // 0000000074D8: D1D303C4 0712C762
	v_max3_f32 v197, |v100|, |v101|, v197                      // 0000000074E0: D1D303C5 0716CB64
	v_max3_f32 v197, |v102|, |v103|, v197                      // 0000000074E8: D1D303C5 0716CF66
	v_max3_f32 v198, |v104|, |v105|, v198                      // 0000000074F0: D1D303C6 071AD368
	v_max3_f32 v198, |v106|, |v107|, v198                      // 0000000074F8: D1D303C6 071AD76A
	v_max3_f32 v199, |v108|, |v109|, v199                      // 000000007500: D1D303C7 071EDB6C
	v_max3_f32 v199, |v110|, |v111|, v199                      // 000000007508: D1D303C7 071EDF6E
	v_max3_f32 v196, |v112|, |v113|, v196                      // 000000007510: D1D303C4 0712E370
	v_max3_f32 v196, |v114|, |v115|, v196                      // 000000007518: D1D303C4 0712E772
	v_max3_f32 v197, |v116|, |v117|, v197                      // 000000007520: D1D303C5 0716EB74
	v_max3_f32 v197, |v118|, |v119|, v197                      // 000000007528: D1D303C5 0716EF76
	v_max3_f32 v198, |v120|, |v121|, v198                      // 000000007530: D1D303C6 071AF378
	v_max3_f32 v198, |v122|, |v123|, v198                      // 000000007538: D1D303C6 071AF77A
	v_max3_f32 v199, |v124|, |v125|, v199                      // 000000007540: D1D303C7 071EFB7C
	v_max3_f32 v199, |v126|, |v127|, v199                      // 000000007548: D1D303C7 071EFF7E
	v_xor_b32_e32 v60, 32, v0                                  // 000000007550: 2A7800A0
	v_lshlrev_b32_e32 v60, 2, v60                              // 000000007554: 24787882
	s_nop 1                                                    // 000000007558: BF800001
	ds_bpermute_b32 v60, v60, v196                             // 00000000755C: D87E0000 3C00C43C
	s_waitcnt lgkmcnt(0)                                       // 000000007564: BF8CC07F
	v_max_f32_e32 v196, v60, v196                              // 000000007568: 1789893C
	v_xor_b32_e32 v60, 16, v0                                  // 00000000756C: 2A780090
	v_lshlrev_b32_e32 v60, 2, v60                              // 000000007570: 24787882
	s_nop 1                                                    // 000000007574: BF800001
	ds_bpermute_b32 v60, v60, v196                             // 000000007578: D87E0000 3C00C43C
	s_waitcnt lgkmcnt(0)                                       // 000000007580: BF8CC07F
	v_max_f32_e32 v196, v60, v196                              // 000000007584: 1789893C
	v_xor_b32_e32 v60, 32, v0                                  // 000000007588: 2A7800A0
	v_lshlrev_b32_e32 v60, 2, v60                              // 00000000758C: 24787882
	s_nop 1                                                    // 000000007590: BF800001
	ds_bpermute_b32 v60, v60, v197                             // 000000007594: D87E0000 3C00C53C
	s_waitcnt lgkmcnt(0)                                       // 00000000759C: BF8CC07F
	v_max_f32_e32 v197, v60, v197                              // 0000000075A0: 178B8B3C
	v_xor_b32_e32 v60, 16, v0                                  // 0000000075A4: 2A780090
	v_lshlrev_b32_e32 v60, 2, v60                              // 0000000075A8: 24787882
	s_nop 1                                                    // 0000000075AC: BF800001
	ds_bpermute_b32 v60, v60, v197                             // 0000000075B0: D87E0000 3C00C53C
	s_waitcnt lgkmcnt(0)                                       // 0000000075B8: BF8CC07F
	v_max_f32_e32 v197, v60, v197                              // 0000000075BC: 178B8B3C
	v_xor_b32_e32 v60, 32, v0                                  // 0000000075C0: 2A7800A0
	v_lshlrev_b32_e32 v60, 2, v60                              // 0000000075C4: 24787882
	s_nop 1                                                    // 0000000075C8: BF800001
	ds_bpermute_b32 v60, v60, v198                             // 0000000075CC: D87E0000 3C00C63C
	s_waitcnt lgkmcnt(0)                                       // 0000000075D4: BF8CC07F
	v_max_f32_e32 v198, v60, v198                              // 0000000075D8: 178D8D3C
	v_xor_b32_e32 v60, 16, v0                                  // 0000000075DC: 2A780090
	v_lshlrev_b32_e32 v60, 2, v60                              // 0000000075E0: 24787882
	s_nop 1                                                    // 0000000075E4: BF800001
	ds_bpermute_b32 v60, v60, v198                             // 0000000075E8: D87E0000 3C00C63C
	s_waitcnt lgkmcnt(0)                                       // 0000000075F0: BF8CC07F
	v_max_f32_e32 v198, v60, v198                              // 0000000075F4: 178D8D3C
	v_xor_b32_e32 v60, 32, v0                                  // 0000000075F8: 2A7800A0
	v_lshlrev_b32_e32 v60, 2, v60                              // 0000000075FC: 24787882
	s_nop 1                                                    // 000000007600: BF800001
	ds_bpermute_b32 v60, v60, v199                             // 000000007604: D87E0000 3C00C73C
	s_waitcnt lgkmcnt(0)                                       // 00000000760C: BF8CC07F
	v_max_f32_e32 v199, v60, v199                              // 000000007610: 178F8F3C
	v_xor_b32_e32 v60, 16, v0                                  // 000000007614: 2A780090
	v_lshlrev_b32_e32 v60, 2, v60                              // 000000007618: 24787882
	s_nop 1                                                    // 00000000761C: BF800001
	ds_bpermute_b32 v60, v60, v199                             // 000000007620: D87E0000 3C00C73C
	s_waitcnt lgkmcnt(0)                                       // 000000007628: BF8CC07F
	v_max_f32_e32 v199, v60, v199                              // 00000000762C: 178F8F3C
	v_lshlrev_b32_e32 v60, 2, v0                               // 000000007630: 24780082
	s_mul_i32 s56, 64, s7                                      // 000000007634: 923807C0
	v_add_u32_e32 v60, s56, v60                                // 000000007638: 68787838
	s_mov_b32 s56, 0xffff                                      // 00000000763C: BEB800FF 0000FFFF
	s_mov_b32 s57, 0                                           // 000000007644: BEB90080
	s_mov_b64 exec, s[56:57]                                   // 000000007648: BEFE0138
	ds_write_b32 v60, v196 offset:37120                        // 00000000764C: D81A9100 0000C43C
	ds_write_b32 v60, v197 offset:37376                        // 000000007654: D81A9200 0000C53C
	ds_write_b32 v60, v198 offset:37632                        // 00000000765C: D81A9300 0000C63C
	ds_write_b32 v60, v199 offset:37888                        // 000000007664: D81A9400 0000C73C
	s_mov_b32 s56, -1                                          // 00000000766C: BEB800C1
	s_mov_b32 s57, -1                                          // 000000007670: BEB900C1
	s_mov_b64 exec, s[56:57]                                   // 000000007674: BEFE0138
	s_waitcnt lgkmcnt(0)                                       // 000000007678: BF8CC07F
	s_barrier                                                  // 00000000767C: BF8A0000
	v_lshlrev_b32_e32 v60, 2, v0                               // 000000007680: 24780082
	ds_read_b32 v252, v60 offset:37120                         // 000000007684: D86C9100 FC00003C
	ds_read_b32 v253, v60 offset:37376                         // 00000000768C: D86C9200 FD00003C
	ds_read_b32 v254, v60 offset:37632                         // 000000007694: D86C9300 FE00003C
	ds_read_b32 v255, v60 offset:37888                         // 00000000769C: D86C9400 FF00003C
	s_waitcnt lgkmcnt(0)                                       // 0000000076A4: BF8CC07F
	v_xor_b32_e32 v60, 32, v0                                  // 0000000076A8: 2A7800A0
	v_lshlrev_b32_e32 v60, 2, v60                              // 0000000076AC: 24787882
	s_nop 1                                                    // 0000000076B0: BF800001
	ds_bpermute_b32 v60, v60, v252                             // 0000000076B4: D87E0000 3C00FC3C
	s_waitcnt lgkmcnt(0)                                       // 0000000076BC: BF8CC07F
	v_max_f32_e32 v252, v60, v252                              // 0000000076C0: 17F9F93C
	v_xor_b32_e32 v60, 16, v0                                  // 0000000076C4: 2A780090
	v_lshlrev_b32_e32 v60, 2, v60                              // 0000000076C8: 24787882
	s_nop 1                                                    // 0000000076CC: BF800001
	ds_bpermute_b32 v60, v60, v252                             // 0000000076D0: D87E0000 3C00FC3C
	s_waitcnt lgkmcnt(0)                                       // 0000000076D8: BF8CC07F
	v_max_f32_e32 v252, v60, v252                              // 0000000076DC: 17F9F93C
	v_xor_b32_e32 v60, 32, v0                                  // 0000000076E0: 2A7800A0
	v_lshlrev_b32_e32 v60, 2, v60                              // 0000000076E4: 24787882
	s_nop 1                                                    // 0000000076E8: BF800001
	ds_bpermute_b32 v60, v60, v253                             // 0000000076EC: D87E0000 3C00FD3C
	s_waitcnt lgkmcnt(0)                                       // 0000000076F4: BF8CC07F
	v_max_f32_e32 v253, v60, v253                              // 0000000076F8: 17FBFB3C
	v_xor_b32_e32 v60, 16, v0                                  // 0000000076FC: 2A780090
	v_lshlrev_b32_e32 v60, 2, v60                              // 000000007700: 24787882
	s_nop 1                                                    // 000000007704: BF800001
	ds_bpermute_b32 v60, v60, v253                             // 000000007708: D87E0000 3C00FD3C
	s_waitcnt lgkmcnt(0)                                       // 000000007710: BF8CC07F
	v_max_f32_e32 v253, v60, v253                              // 000000007714: 17FBFB3C
	v_xor_b32_e32 v60, 32, v0                                  // 000000007718: 2A7800A0
	v_lshlrev_b32_e32 v60, 2, v60                              // 00000000771C: 24787882
	s_nop 1                                                    // 000000007720: BF800001
	ds_bpermute_b32 v60, v60, v254                             // 000000007724: D87E0000 3C00FE3C
	s_waitcnt lgkmcnt(0)                                       // 00000000772C: BF8CC07F
	v_max_f32_e32 v254, v60, v254                              // 000000007730: 17FDFD3C
	v_xor_b32_e32 v60, 16, v0                                  // 000000007734: 2A780090
	v_lshlrev_b32_e32 v60, 2, v60                              // 000000007738: 24787882
	s_nop 1                                                    // 00000000773C: BF800001
	ds_bpermute_b32 v60, v60, v254                             // 000000007740: D87E0000 3C00FE3C
	s_waitcnt lgkmcnt(0)                                       // 000000007748: BF8CC07F
	v_max_f32_e32 v254, v60, v254                              // 00000000774C: 17FDFD3C
	v_xor_b32_e32 v60, 32, v0                                  // 000000007750: 2A7800A0
	v_lshlrev_b32_e32 v60, 2, v60                              // 000000007754: 24787882
	s_nop 1                                                    // 000000007758: BF800001
	ds_bpermute_b32 v60, v60, v255                             // 00000000775C: D87E0000 3C00FF3C
	s_waitcnt lgkmcnt(0)                                       // 000000007764: BF8CC07F
	v_max_f32_e32 v255, v60, v255                              // 000000007768: 17FFFF3C
	v_xor_b32_e32 v60, 16, v0                                  // 00000000776C: 2A780090
	v_lshlrev_b32_e32 v60, 2, v60                              // 000000007770: 24787882
	s_nop 1                                                    // 000000007774: BF800001
	ds_bpermute_b32 v60, v60, v255                             // 000000007778: D87E0000 3C00FF3C
	s_waitcnt lgkmcnt(0)                                       // 000000007780: BF8CC07F
	v_max_f32_e32 v255, v60, v255                              // 000000007784: 17FFFF3C
	v_max_f32_e32 v196, v252, v196                             // 000000007788: 178989FC
	v_max_f32_e32 v197, v253, v197                             // 00000000778C: 178B8BFD
	v_max_f32_e32 v198, v254, v198                             // 000000007790: 178D8DFE
	v_max_f32_e32 v199, v255, v199                             // 000000007794: 178F8FFF
	v_rcp_f32_e32 v196, v196                                   // 000000007798: 7F8845C4
	v_rcp_f32_e32 v197, v197                                   // 00000000779C: 7F8A45C5
	v_rcp_f32_e32 v198, v198                                   // 0000000077A0: 7F8C45C6
	v_rcp_f32_e32 v199, v199                                   // 0000000077A4: 7F8E45C7
	v_mov_b32_e32 v60, 0x43700000                              // 0000000077A8: 7E7802FF 43700000
	v_mul_f32_e32 v196, v60, v196                              // 0000000077B0: 0B89893C
	v_mul_f32_e32 v197, v60, v197                              // 0000000077B4: 0B8B8B3C
	v_mul_f32_e32 v198, v60, v198                              // 0000000077B8: 0B8D8D3C
	v_mul_f32_e32 v199, v60, v199                              // 0000000077BC: 0B8F8F3C
	v_mul_f32_e32 v96, v196, v96                               // 0000000077C0: 0AC0C1C4
	v_mul_f32_e32 v97, v196, v97                               // 0000000077C4: 0AC2C3C4
	v_mul_f32_e32 v98, v196, v98                               // 0000000077C8: 0AC4C5C4
	v_mul_f32_e32 v99, v196, v99                               // 0000000077CC: 0AC6C7C4
	v_cvt_pk_fp8_f32 v72, v96, v97                             // 0000000077D0: D2A20048 0002C360
	v_cvt_pk_fp8_f32 v72, v98, v99 op_sel:[0,0,1]              // 0000000077D8: D2A24048 0002C762
	v_mul_f32_e32 v100, v197, v100                             // 0000000077E0: 0AC8C9C5
	v_mul_f32_e32 v101, v197, v101                             // 0000000077E4: 0ACACBC5
	v_mul_f32_e32 v102, v197, v102                             // 0000000077E8: 0ACCCDC5
	v_mul_f32_e32 v103, v197, v103                             // 0000000077EC: 0ACECFC5
	v_cvt_pk_fp8_f32 v73, v100, v101                           // 0000000077F0: D2A20049 0002CB64
	v_cvt_pk_fp8_f32 v73, v102, v103 op_sel:[0,0,1]            // 0000000077F8: D2A24049 0002CF66
	v_mul_f32_e32 v104, v198, v104                             // 000000007800: 0AD0D1C6
	v_mul_f32_e32 v105, v198, v105                             // 000000007804: 0AD2D3C6
	v_mul_f32_e32 v106, v198, v106                             // 000000007808: 0AD4D5C6
	v_mul_f32_e32 v107, v198, v107                             // 00000000780C: 0AD6D7C6
	v_cvt_pk_fp8_f32 v74, v104, v105                           // 000000007810: D2A2004A 0002D368
	v_cvt_pk_fp8_f32 v74, v106, v107 op_sel:[0,0,1]            // 000000007818: D2A2404A 0002D76A
	v_mul_f32_e32 v108, v199, v108                             // 000000007820: 0AD8D9C7
	v_mul_f32_e32 v109, v199, v109                             // 000000007824: 0ADADBC7
	v_mul_f32_e32 v110, v199, v110                             // 000000007828: 0ADCDDC7
	v_mul_f32_e32 v111, v199, v111                             // 00000000782C: 0ADEDFC7
	v_cvt_pk_fp8_f32 v75, v108, v109                           // 000000007830: D2A2004B 0002DB6C
	v_cvt_pk_fp8_f32 v75, v110, v111 op_sel:[0,0,1]            // 000000007838: D2A2404B 0002DF6E
	v_mul_f32_e32 v112, v196, v112                             // 000000007840: 0AE0E1C4
	v_mul_f32_e32 v113, v196, v113                             // 000000007844: 0AE2E3C4
	v_mul_f32_e32 v114, v196, v114                             // 000000007848: 0AE4E5C4
	v_mul_f32_e32 v115, v196, v115                             // 00000000784C: 0AE6E7C4
	v_cvt_pk_fp8_f32 v76, v112, v113                           // 000000007850: D2A2004C 0002E370
	v_cvt_pk_fp8_f32 v76, v114, v115 op_sel:[0,0,1]            // 000000007858: D2A2404C 0002E772
	v_mul_f32_e32 v116, v197, v116                             // 000000007860: 0AE8E9C5
	v_mul_f32_e32 v117, v197, v117                             // 000000007864: 0AEAEBC5
	v_mul_f32_e32 v118, v197, v118                             // 000000007868: 0AECEDC5
	v_mul_f32_e32 v119, v197, v119                             // 00000000786C: 0AEEEFC5
	v_cvt_pk_fp8_f32 v77, v116, v117                           // 000000007870: D2A2004D 0002EB74
	v_cvt_pk_fp8_f32 v77, v118, v119 op_sel:[0,0,1]            // 000000007878: D2A2404D 0002EF76
	v_mul_f32_e32 v120, v198, v120                             // 000000007880: 0AF0F1C6
	v_mul_f32_e32 v121, v198, v121                             // 000000007884: 0AF2F3C6
	v_mul_f32_e32 v122, v198, v122                             // 000000007888: 0AF4F5C6
	v_mul_f32_e32 v123, v198, v123                             // 00000000788C: 0AF6F7C6
	v_cvt_pk_fp8_f32 v78, v120, v121                           // 000000007890: D2A2004E 0002F378
	v_cvt_pk_fp8_f32 v78, v122, v123 op_sel:[0,0,1]            // 000000007898: D2A2404E 0002F77A
	v_mul_f32_e32 v124, v199, v124                             // 0000000078A0: 0AF8F9C7
	v_mul_f32_e32 v125, v199, v125                             // 0000000078A4: 0AFAFBC7
	v_mul_f32_e32 v126, v199, v126                             // 0000000078A8: 0AFCFDC7
	v_mul_f32_e32 v127, v199, v127                             // 0000000078AC: 0AFEFFC7
	v_cvt_pk_fp8_f32 v79, v124, v125                           // 0000000078B0: D2A2004F 0002FB7C
	v_cvt_pk_fp8_f32 v79, v126, v127 op_sel:[0,0,1]            // 0000000078B8: D2A2404F 0002FF7E
	v_rcp_f32_e32 v25, v196                                    // 0000000078C0: 7E3245C4
	v_rcp_f32_e32 v26, v197                                    // 0000000078C4: 7E3445C5
	v_rcp_f32_e32 v27, v198                                    // 0000000078C8: 7E3645C6
	v_rcp_f32_e32 v28, v199                                    // 0000000078CC: 7E3845C7
	v_lshrrev_b32_e32 v60, 5, v0                               // 0000000078D0: 20780085
	v_lshlrev_b32_e32 v61, 5, v60                              // 0000000078D4: 247A7885
	v_and_b32_e32 v60, 31, v0                                  // 0000000078D8: 2678009F
	v_lshrrev_b32_e32 v62, 4, v60                              // 0000000078DC: 207C7884
	v_add_u32_e32 v61, v62, v61                                // 0000000078E0: 687A7B3E
	v_and_b32_e32 v60, 15, v0                                  // 0000000078E4: 2678008F
	v_lshlrev_b32_e32 v60, 1, v60                              // 0000000078E8: 24787881
	v_add_u32_e32 v61, v60, v61                                // 0000000078EC: 687A7B3C
	v_lshlrev_b32_e32 v60, 2, v61                              // 0000000078F0: 24787A82
	s_mul_i32 s56, 0x100, s7                                   // 0000000078F4: 923807FF 00000100
	v_add_u32_e64 v60, v60, s56                                // 0000000078FC: D134003C 0000713C
	ds_write_b32 v60, v64 offset:41216                         // 000000007904: D81AA100 0000403C
	ds_write_b32 v60, v65 offset:45312                         // 00000000790C: D81AB100 0000413C
	ds_write_b32 v60, v66 offset:49408                         // 000000007914: D81AC100 0000423C
	ds_write_b32 v60, v67 offset:53504                         // 00000000791C: D81AD100 0000433C
	ds_write_b32 v60, v68 offset:42240                         // 000000007924: D81AA500 0000443C
	ds_write_b32 v60, v69 offset:46336                         // 00000000792C: D81AB500 0000453C
	ds_write_b32 v60, v70 offset:50432                         // 000000007934: D81AC500 0000463C
	ds_write_b32 v60, v71 offset:54528                         // 00000000793C: D81AD500 0000473C
	ds_write_b32 v60, v72 offset:43264                         // 000000007944: D81AA900 0000483C
	ds_write_b32 v60, v73 offset:47360                         // 00000000794C: D81AB900 0000493C
	ds_write_b32 v60, v74 offset:51456                         // 000000007954: D81AC900 00004A3C
	ds_write_b32 v60, v75 offset:55552                         // 00000000795C: D81AD900 00004B3C
	ds_write_b32 v60, v76 offset:44288                         // 000000007964: D81AAD00 00004C3C
	ds_write_b32 v60, v77 offset:48384                         // 00000000796C: D81ABD00 00004D3C
	ds_write_b32 v60, v78 offset:52480                         // 000000007974: D81ACD00 00004E3C
	ds_write_b32 v60, v79 offset:56576                         // 00000000797C: D81ADD00 00004F3C
	s_waitcnt lgkmcnt(0)                                       // 000000007984: BF8CC07F
	s_barrier                                                  // 000000007988: BF8A0000
	v_lshrrev_b32_e32 v60, 4, v0                               // 00000000798C: 20780084
	v_lshlrev_b32_e32 v61, 6, v60                              // 000000007990: 247A7886
	v_and_b32_e32 v60, 15, v0                                  // 000000007994: 2678008F
	v_lshlrev_b32_e32 v60, 1, v60                              // 000000007998: 24787881
	v_add_u32_e32 v61, v60, v61                                // 00000000799C: 687A7B3C
	v_lshlrev_b32_e32 v60, 2, v61                              // 0000000079A0: 24787A82
	ds_read_b64 a[128:129], v60 offset:41216                   // 0000000079A4: DAECA100 8000003C
	ds_read_b64 a[130:131], v60 offset:41344                   // 0000000079AC: DAECA180 8200003C
	ds_read_b64 a[132:133], v60 offset:42240                   // 0000000079B4: DAECA500 8400003C
	ds_read_b64 a[134:135], v60 offset:42368                   // 0000000079BC: DAECA580 8600003C
	ds_read_b64 a[136:137], v60 offset:43264                   // 0000000079C4: DAECA900 8800003C
	ds_read_b64 a[138:139], v60 offset:43392                   // 0000000079CC: DAECA980 8A00003C
	ds_read_b64 a[140:141], v60 offset:44288                   // 0000000079D4: DAECAD00 8C00003C
	ds_read_b64 a[142:143], v60 offset:44416                   // 0000000079DC: DAECAD80 8E00003C
	ds_read_b64 a[144:145], v60 offset:45312                   // 0000000079E4: DAECB100 9000003C
	ds_read_b64 a[146:147], v60 offset:45440                   // 0000000079EC: DAECB180 9200003C
	ds_read_b64 a[148:149], v60 offset:46336                   // 0000000079F4: DAECB500 9400003C
	ds_read_b64 a[150:151], v60 offset:46464                   // 0000000079FC: DAECB580 9600003C
	ds_read_b64 a[152:153], v60 offset:47360                   // 000000007A04: DAECB900 9800003C
	ds_read_b64 a[154:155], v60 offset:47488                   // 000000007A0C: DAECB980 9A00003C
	ds_read_b64 a[156:157], v60 offset:48384                   // 000000007A14: DAECBD00 9C00003C
	ds_read_b64 a[158:159], v60 offset:48512                   // 000000007A1C: DAECBD80 9E00003C
	ds_read_b64 a[160:161], v60 offset:49408                   // 000000007A24: DAECC100 A000003C
	ds_read_b64 a[162:163], v60 offset:49536                   // 000000007A2C: DAECC180 A200003C
	ds_read_b64 a[164:165], v60 offset:50432                   // 000000007A34: DAECC500 A400003C
	ds_read_b64 a[166:167], v60 offset:50560                   // 000000007A3C: DAECC580 A600003C
	ds_read_b64 a[168:169], v60 offset:51456                   // 000000007A44: DAECC900 A800003C
	ds_read_b64 a[170:171], v60 offset:51584                   // 000000007A4C: DAECC980 AA00003C
	ds_read_b64 a[172:173], v60 offset:52480                   // 000000007A54: DAECCD00 AC00003C
	ds_read_b64 a[174:175], v60 offset:52608                   // 000000007A5C: DAECCD80 AE00003C
	ds_read_b64 a[176:177], v60 offset:53504                   // 000000007A64: DAECD100 B000003C
	ds_read_b64 a[178:179], v60 offset:53632                   // 000000007A6C: DAECD180 B200003C
	ds_read_b64 a[180:181], v60 offset:54528                   // 000000007A74: DAECD500 B400003C
	ds_read_b64 a[182:183], v60 offset:54656                   // 000000007A7C: DAECD580 B600003C
	ds_read_b64 a[184:185], v60 offset:55552                   // 000000007A84: DAECD900 B800003C
	ds_read_b64 a[186:187], v60 offset:55680                   // 000000007A8C: DAECD980 BA00003C
	ds_read_b64 a[188:189], v60 offset:56576                   // 000000007A94: DAECDD00 BC00003C
	ds_read_b64 a[190:191], v60 offset:56704                   // 000000007A9C: DAECDD80 BE00003C
	v_lshlrev_b32_e32 v60, 2, v0                               // 000000007AA4: 24780082
	s_mul_i32 s56, s78, s67                                    // 000000007AA8: 9238434E
	v_add_u32_e64 v96, v60, s56                                // 000000007AAC: D1340060 0000713C
	v_mov_b32_e32 v97, 0                                       // 000000007AB4: 7EC20280
	s_mul_i32 s56, s79, s67                                    // 000000007AB8: 9238434F
	v_add_u32_e64 v98, v60, s56                                // 000000007ABC: D1340062 0000713C
	v_mov_b32_e32 v99, 0                                       // 000000007AC4: 7EC60280
	s_mul_i32 s56, s80, s67                                    // 000000007AC8: 92384350
	v_add_u32_e64 v100, v60, s56                               // 000000007ACC: D1340064 0000713C
	v_mov_b32_e32 v101, 0                                      // 000000007AD4: 7ECA0280
	s_mul_i32 s56, s81, s67                                    // 000000007AD8: 92384351
	v_add_u32_e64 v102, v60, s56                               // 000000007ADC: D1340066 0000713C
	v_mov_b32_e32 v103, 0                                      // 000000007AE4: 7ECE0280
	s_mul_i32 s56, s82, s67                                    // 000000007AE8: 92384352
	v_add_u32_e64 v104, v60, s56                               // 000000007AEC: D1340068 0000713C
	v_mov_b32_e32 v105, 0                                      // 000000007AF4: 7ED20280
	s_mul_i32 s56, s83, s67                                    // 000000007AF8: 92384353
	v_add_u32_e64 v106, v60, s56                               // 000000007AFC: D134006A 0000713C
	v_mov_b32_e32 v107, 0                                      // 000000007B04: 7ED60280
	s_mul_i32 s56, s84, s67                                    // 000000007B08: 92384354
	v_add_u32_e64 v108, v60, s56                               // 000000007B0C: D134006C 0000713C
	v_mov_b32_e32 v109, 0                                      // 000000007B14: 7EDA0280
	s_mul_i32 s56, s85, s67                                    // 000000007B18: 92384355
	v_add_u32_e64 v110, v60, s56                               // 000000007B1C: D134006E 0000713C
	v_mov_b32_e32 v111, 0                                      // 000000007B24: 7EDE0280
	s_mul_i32 s56, s86, s67                                    // 000000007B28: 92384356
	v_add_u32_e64 v112, v60, s56                               // 000000007B2C: D1340070 0000713C
	v_mov_b32_e32 v113, 0                                      // 000000007B34: 7EE20280
	s_mul_i32 s56, s87, s67                                    // 000000007B38: 92384357
	v_add_u32_e64 v114, v60, s56                               // 000000007B3C: D1340072 0000713C
	v_mov_b32_e32 v115, 0                                      // 000000007B44: 7EE60280
	s_mul_i32 s56, s88, s67                                    // 000000007B48: 92384358
	v_add_u32_e64 v116, v60, s56                               // 000000007B4C: D1340074 0000713C
	v_mov_b32_e32 v117, 0                                      // 000000007B54: 7EEA0280
	s_mul_i32 s56, s89, s67                                    // 000000007B58: 92384359
	v_add_u32_e64 v118, v60, s56                               // 000000007B5C: D1340076 0000713C
	v_mov_b32_e32 v119, 0                                      // 000000007B64: 7EEE0280
	s_mul_i32 s56, s90, s67                                    // 000000007B68: 9238435A
	v_add_u32_e64 v120, v60, s56                               // 000000007B6C: D1340078 0000713C
	v_mov_b32_e32 v121, 0                                      // 000000007B74: 7EF20280
	s_mul_i32 s56, s91, s67                                    // 000000007B78: 9238435B
	v_add_u32_e64 v122, v60, s56                               // 000000007B7C: D134007A 0000713C
	v_mov_b32_e32 v123, 0                                      // 000000007B84: 7EF60280
	s_mul_i32 s56, s92, s67                                    // 000000007B88: 9238435C
	v_add_u32_e64 v124, v60, s56                               // 000000007B8C: D134007C 0000713C
	v_mov_b32_e32 v125, 0                                      // 000000007B94: 7EFA0280
	s_mul_i32 s56, s93, s67                                    // 000000007B98: 9238435D
	v_add_u32_e64 v126, v60, s56                               // 000000007B9C: D134007E 0000713C
	v_mov_b32_e32 v127, 0                                      // 000000007BA4: 7EFE0280
	s_add_u32 s12, s52, s12                                    // 000000007BA8: 800C0C34
	s_addc_u32 s13, 0, s13                                     // 000000007BAC: 820D0D80
	s_add_u32 s16, s75, s16                                    // 000000007BB0: 8010104B
	s_addc_u32 s17, 0, s17                                     // 000000007BB4: 82111180
	s_mov_b32 s76, 0                                           // 000000007BB8: BECC0080
	s_waitcnt vmcnt(0) expcnt(0) lgkmcnt(0)                    // 000000007BBC: BF8C0000

0000000000007bc0 <label_1370>:
	s_waitcnt vmcnt(12)                                        // 000000007BC0: BF8C0F7C
	s_barrier                                                  // 000000007BC4: BF8A0000
	v_mfma_f32_16x16x32_fp8_fp8 v[128:131], a[0:1], a[128:129], 0// 000000007BC8: D3F30080 1A030100
	v_mfma_f32_16x16x32_fp8_fp8 v[128:131], a[2:3], a[130:131], v[128:131]// 000000007BD0: D3F30080 1E030502
	buffer_load_dwordx4 a[64:67], v51, s[12:15], 0 offen       // 000000007BD8: E05C1000 80834033
	v_mfma_f32_16x16x32_fp8_fp8 v[132:135], a[0:1], a[144:145], 0// 000000007BE0: D3F30084 1A032100
	v_mfma_f32_16x16x32_fp8_fp8 v[132:135], a[2:3], a[146:147], v[132:135]// 000000007BE8: D3F30084 1E132502
	buffer_load_dword v38, v8, s[16:19], 0 offen               // 000000007BF0: E0501000 80042608
	v_mfma_f32_16x16x32_fp8_fp8 v[136:139], a[0:1], a[160:161], 0// 000000007BF8: D3F30088 1A034100
	v_mfma_f32_16x16x32_fp8_fp8 v[136:139], a[2:3], a[162:163], v[136:139]// 000000007C00: D3F30088 1E234502
	buffer_load_dwordx4 a[68:71], v52, s[12:15], 0 offen       // 000000007C08: E05C1000 80834434
	v_mfma_f32_16x16x32_fp8_fp8 v[140:143], a[0:1], a[176:177], 0// 000000007C10: D3F3008C 1A036100
	v_mfma_f32_16x16x32_fp8_fp8 v[140:143], a[2:3], a[178:179], v[140:143]// 000000007C18: D3F3008C 1E336502
	v_mfma_f32_16x16x32_fp8_fp8 v[144:147], a[4:5], a[128:129], 0// 000000007C20: D3F30090 1A030104
	v_mfma_f32_16x16x32_fp8_fp8 v[144:147], a[6:7], a[130:131], v[144:147]// 000000007C28: D3F30090 1E430506
	buffer_load_dwordx4 a[72:75], v53, s[12:15], 0 offen       // 000000007C30: E05C1000 80834835
	v_mfma_f32_16x16x32_fp8_fp8 v[148:151], a[4:5], a[144:145], 0// 000000007C38: D3F30094 1A032104
	v_mfma_f32_16x16x32_fp8_fp8 v[148:151], a[6:7], a[146:147], v[148:151]// 000000007C40: D3F30094 1E532506
	v_mfma_f32_16x16x32_fp8_fp8 v[152:155], a[4:5], a[160:161], 0// 000000007C48: D3F30098 1A034104
	v_mfma_f32_16x16x32_fp8_fp8 v[152:155], a[6:7], a[162:163], v[152:155]// 000000007C50: D3F30098 1E634506
	buffer_load_dwordx4 a[76:79], v54, s[12:15], 0 offen       // 000000007C58: E05C1000 80834C36
	s_add_u32 s12, s74, s12                                    // 000000007C60: 800C0C4A
	s_addc_u32 s13, 0, s13                                     // 000000007C64: 820D0D80
	v_mfma_f32_16x16x32_fp8_fp8 v[156:159], a[4:5], a[176:177], 0// 000000007C68: D3F3009C 1A036104
	v_mfma_f32_16x16x32_fp8_fp8 v[156:159], a[6:7], a[178:179], v[156:159]// 000000007C70: D3F3009C 1E736506
	s_waitcnt vmcnt(13)                                        // 000000007C78: BF8C0F7D
	v_mfma_f32_16x16x32_fp8_fp8 v[160:163], a[8:9], a[128:129], 0// 000000007C7C: D3F300A0 1A030108
	v_mfma_f32_16x16x32_fp8_fp8 v[160:163], a[10:11], a[130:131], v[160:163]// 000000007C84: D3F300A0 1E83050A
	buffer_load_dwordx4 a[80:83], v51, s[12:15], 0 offen       // 000000007C8C: E05C1000 80835033
	v_mfma_f32_16x16x32_fp8_fp8 v[164:167], a[8:9], a[144:145], 0// 000000007C94: D3F300A4 1A032108
	v_mfma_f32_16x16x32_fp8_fp8 v[164:167], a[10:11], a[146:147], v[164:167]// 000000007C9C: D3F300A4 1E93250A
	v_mfma_f32_16x16x32_fp8_fp8 v[168:171], a[8:9], a[160:161], 0// 000000007CA4: D3F300A8 1A034108
	v_mfma_f32_16x16x32_fp8_fp8 v[168:171], a[10:11], a[162:163], v[168:171]// 000000007CAC: D3F300A8 1EA3450A
	buffer_load_dwordx4 a[84:87], v52, s[12:15], 0 offen       // 000000007CB4: E05C1000 80835434
	v_mfma_f32_16x16x32_fp8_fp8 v[172:175], a[8:9], a[176:177], 0// 000000007CBC: D3F300AC 1A036108
	v_mfma_f32_16x16x32_fp8_fp8 v[172:175], a[10:11], a[178:179], v[172:175]// 000000007CC4: D3F300AC 1EB3650A
	v_mfma_f32_16x16x32_fp8_fp8 v[176:179], a[12:13], a[128:129], 0// 000000007CCC: D3F300B0 1A03010C
	v_mfma_f32_16x16x32_fp8_fp8 v[176:179], a[14:15], a[130:131], v[176:179]// 000000007CD4: D3F300B0 1EC3050E
	buffer_load_dwordx4 a[88:91], v53, s[12:15], 0 offen       // 000000007CDC: E05C1000 80835835
	v_mfma_f32_16x16x32_fp8_fp8 v[180:183], a[12:13], a[144:145], 0// 000000007CE4: D3F300B4 1A03210C
	v_mfma_f32_16x16x32_fp8_fp8 v[180:183], a[14:15], a[146:147], v[180:183]// 000000007CEC: D3F300B4 1ED3250E
	v_mfma_f32_16x16x32_fp8_fp8 v[184:187], a[12:13], a[160:161], 0// 000000007CF4: D3F300B8 1A03410C
	v_mfma_f32_16x16x32_fp8_fp8 v[184:187], a[14:15], a[162:163], v[184:187]// 000000007CFC: D3F300B8 1EE3450E
	buffer_load_dwordx4 a[92:95], v54, s[12:15], 0 offen       // 000000007D04: E05C1000 80835C36
	s_add_u32 s12, s74, s12                                    // 000000007D0C: 800C0C4A
	s_addc_u32 s13, 0, s13                                     // 000000007D10: 820D0D80
	v_mfma_f32_16x16x32_fp8_fp8 v[188:191], a[12:13], a[176:177], 0// 000000007D14: D3F300BC 1A03610C
	v_mfma_f32_16x16x32_fp8_fp8 v[188:191], a[14:15], a[178:179], v[188:191]// 000000007D1C: D3F300BC 1EF3650E
	s_waitcnt vmcnt(13)                                        // 000000007D24: BF8C0F7D
	v_mfma_f32_16x16x32_fp8_fp8 v[128:131], a[16:17], a[132:133], v[128:131]// 000000007D28: D3F30080 1E030910
	v_mfma_f32_16x16x32_fp8_fp8 v[128:131], a[18:19], a[134:135], v[128:131]// 000000007D30: D3F30080 1E030D12
	buffer_load_dwordx4 a[96:99], v51, s[12:15], 0 offen       // 000000007D38: E05C1000 80836033
	v_mfma_f32_16x16x32_fp8_fp8 v[132:135], a[16:17], a[148:149], v[132:135]// 000000007D40: D3F30084 1E132910
	v_mfma_f32_16x16x32_fp8_fp8 v[132:135], a[18:19], a[150:151], v[132:135]// 000000007D48: D3F30084 1E132D12
	v_mfma_f32_16x16x32_fp8_fp8 v[136:139], a[16:17], a[164:165], v[136:139]// 000000007D50: D3F30088 1E234910
	v_mfma_f32_16x16x32_fp8_fp8 v[136:139], a[18:19], a[166:167], v[136:139]// 000000007D58: D3F30088 1E234D12
	buffer_load_dwordx4 a[100:103], v52, s[12:15], 0 offen     // 000000007D60: E05C1000 80836434
	v_mfma_f32_16x16x32_fp8_fp8 v[140:143], a[16:17], a[180:181], v[140:143]// 000000007D68: D3F3008C 1E336910
	v_mfma_f32_16x16x32_fp8_fp8 v[140:143], a[18:19], a[182:183], v[140:143]// 000000007D70: D3F3008C 1E336D12
	v_mfma_f32_16x16x32_fp8_fp8 v[144:147], a[20:21], a[132:133], v[144:147]// 000000007D78: D3F30090 1E430914
	v_mfma_f32_16x16x32_fp8_fp8 v[144:147], a[22:23], a[134:135], v[144:147]// 000000007D80: D3F30090 1E430D16
	buffer_load_dwordx4 a[104:107], v53, s[12:15], 0 offen     // 000000007D88: E05C1000 80836835
	v_mfma_f32_16x16x32_fp8_fp8 v[148:151], a[20:21], a[148:149], v[148:151]// 000000007D90: D3F30094 1E532914
	v_mfma_f32_16x16x32_fp8_fp8 v[148:151], a[22:23], a[150:151], v[148:151]// 000000007D98: D3F30094 1E532D16
	v_mfma_f32_16x16x32_fp8_fp8 v[152:155], a[20:21], a[164:165], v[152:155]// 000000007DA0: D3F30098 1E634914
	v_mfma_f32_16x16x32_fp8_fp8 v[152:155], a[22:23], a[166:167], v[152:155]// 000000007DA8: D3F30098 1E634D16
	buffer_load_dwordx4 a[108:111], v54, s[12:15], 0 offen     // 000000007DB0: E05C1000 80836C36
	s_add_u32 s12, s74, s12                                    // 000000007DB8: 800C0C4A
	s_addc_u32 s13, 0, s13                                     // 000000007DBC: 820D0D80
	v_mfma_f32_16x16x32_fp8_fp8 v[156:159], a[20:21], a[180:181], v[156:159]// 000000007DC0: D3F3009C 1E736914
	v_mfma_f32_16x16x32_fp8_fp8 v[156:159], a[22:23], a[182:183], v[156:159]// 000000007DC8: D3F3009C 1E736D16
	s_waitcnt vmcnt(13)                                        // 000000007DD0: BF8C0F7D
	v_mfma_f32_16x16x32_fp8_fp8 v[160:163], a[24:25], a[132:133], v[160:163]// 000000007DD4: D3F300A0 1E830918
	v_mfma_f32_16x16x32_fp8_fp8 v[160:163], a[26:27], a[134:135], v[160:163]// 000000007DDC: D3F300A0 1E830D1A
	buffer_load_dwordx4 a[112:115], v51, s[12:15], 0 offen     // 000000007DE4: E05C1000 80837033
	v_mfma_f32_16x16x32_fp8_fp8 v[164:167], a[24:25], a[148:149], v[164:167]// 000000007DEC: D3F300A4 1E932918
	v_mfma_f32_16x16x32_fp8_fp8 v[164:167], a[26:27], a[150:151], v[164:167]// 000000007DF4: D3F300A4 1E932D1A
	v_mfma_f32_16x16x32_fp8_fp8 v[168:171], a[24:25], a[164:165], v[168:171]// 000000007DFC: D3F300A8 1EA34918
	v_mfma_f32_16x16x32_fp8_fp8 v[168:171], a[26:27], a[166:167], v[168:171]// 000000007E04: D3F300A8 1EA34D1A
	buffer_load_dwordx4 a[116:119], v52, s[12:15], 0 offen     // 000000007E0C: E05C1000 80837434
	v_mfma_f32_16x16x32_fp8_fp8 v[172:175], a[24:25], a[180:181], v[172:175]// 000000007E14: D3F300AC 1EB36918
	v_mfma_f32_16x16x32_fp8_fp8 v[172:175], a[26:27], a[182:183], v[172:175]// 000000007E1C: D3F300AC 1EB36D1A
	v_mfma_f32_16x16x32_fp8_fp8 v[176:179], a[28:29], a[132:133], v[176:179]// 000000007E24: D3F300B0 1EC3091C
	v_mfma_f32_16x16x32_fp8_fp8 v[176:179], a[30:31], a[134:135], v[176:179]// 000000007E2C: D3F300B0 1EC30D1E
	buffer_load_dwordx4 a[120:123], v53, s[12:15], 0 offen     // 000000007E34: E05C1000 80837835
	v_mfma_f32_16x16x32_fp8_fp8 v[180:183], a[28:29], a[148:149], v[180:183]// 000000007E3C: D3F300B4 1ED3291C
	v_mfma_f32_16x16x32_fp8_fp8 v[180:183], a[30:31], a[150:151], v[180:183]// 000000007E44: D3F300B4 1ED32D1E
	v_mfma_f32_16x16x32_fp8_fp8 v[184:187], a[28:29], a[164:165], v[184:187]// 000000007E4C: D3F300B8 1EE3491C
	v_mfma_f32_16x16x32_fp8_fp8 v[184:187], a[30:31], a[166:167], v[184:187]// 000000007E54: D3F300B8 1EE34D1E
	buffer_load_dwordx4 a[124:127], v54, s[12:15], 0 offen     // 000000007E5C: E05C1000 80837C36
	v_mfma_f32_16x16x32_fp8_fp8 v[188:191], a[28:29], a[180:181], v[188:191]// 000000007E64: D3F300BC 1EF3691C
	v_mfma_f32_16x16x32_fp8_fp8 v[188:191], a[30:31], a[182:183], v[188:191]// 000000007E6C: D3F300BC 1EF36D1E
	v_mul_f32_dpp v60, v37, v21 row_newbcast:0 row_mask:0xf bank_mask:0xf// 000000007E74: 0A782AFA FF015025
	v_mov_b32_e32 v61, v60                                     // 000000007E7C: 7E7A033C
	v_pk_mul_f32 v[128:129], v[60:61], v[128:129]              // 000000007E80: D3B14080 1803013C
	v_pk_mul_f32 v[130:131], v[60:61], v[130:131]              // 000000007E88: D3B14082 1803053C
	v_pk_mul_f32 v[144:145], v[60:61], v[144:145]              // 000000007E90: D3B14090 1803213C
	v_pk_mul_f32 v[146:147], v[60:61], v[146:147]              // 000000007E98: D3B14092 1803253C
	v_mul_f32_dpp v60, v37, v21 row_newbcast:1 row_mask:0xf bank_mask:0xf// 000000007EA0: 0A782AFA FF015125
	v_mov_b32_e32 v61, v60                                     // 000000007EA8: 7E7A033C
	v_pk_mul_f32 v[160:161], v[60:61], v[160:161]              // 000000007EAC: D3B140A0 1803413C
	v_pk_mul_f32 v[162:163], v[60:61], v[162:163]              // 000000007EB4: D3B140A2 1803453C
	v_pk_mul_f32 v[176:177], v[60:61], v[176:177]              // 000000007EBC: D3B140B0 1803613C
	v_pk_mul_f32 v[178:179], v[60:61], v[178:179]              // 000000007EC4: D3B140B2 1803653C
	v_mul_f32_dpp v60, v37, v22 row_newbcast:0 row_mask:0xf bank_mask:0xf// 000000007ECC: 0A782CFA FF015025
	v_mov_b32_e32 v61, v60                                     // 000000007ED4: 7E7A033C
	v_pk_mul_f32 v[132:133], v[60:61], v[132:133]              // 000000007ED8: D3B14084 1803093C
	v_pk_mul_f32 v[134:135], v[60:61], v[134:135]              // 000000007EE0: D3B14086 18030D3C
	v_pk_mul_f32 v[148:149], v[60:61], v[148:149]              // 000000007EE8: D3B14094 1803293C
	v_pk_mul_f32 v[150:151], v[60:61], v[150:151]              // 000000007EF0: D3B14096 18032D3C
	v_mul_f32_dpp v60, v37, v22 row_newbcast:1 row_mask:0xf bank_mask:0xf// 000000007EF8: 0A782CFA FF015125
	v_mov_b32_e32 v61, v60                                     // 000000007F00: 7E7A033C
	v_pk_mul_f32 v[164:165], v[60:61], v[164:165]              // 000000007F04: D3B140A4 1803493C
	v_pk_mul_f32 v[166:167], v[60:61], v[166:167]              // 000000007F0C: D3B140A6 18034D3C
	v_pk_mul_f32 v[180:181], v[60:61], v[180:181]              // 000000007F14: D3B140B4 1803693C
	v_pk_mul_f32 v[182:183], v[60:61], v[182:183]              // 000000007F1C: D3B140B6 18036D3C
	v_mul_f32_dpp v60, v37, v23 row_newbcast:0 row_mask:0xf bank_mask:0xf// 000000007F24: 0A782EFA FF015025
	v_mov_b32_e32 v61, v60                                     // 000000007F2C: 7E7A033C
	v_pk_mul_f32 v[136:137], v[60:61], v[136:137]              // 000000007F30: D3B14088 1803113C
	v_pk_mul_f32 v[138:139], v[60:61], v[138:139]              // 000000007F38: D3B1408A 1803153C
	v_pk_mul_f32 v[152:153], v[60:61], v[152:153]              // 000000007F40: D3B14098 1803313C
	v_pk_mul_f32 v[154:155], v[60:61], v[154:155]              // 000000007F48: D3B1409A 1803353C
	v_mul_f32_dpp v60, v37, v23 row_newbcast:1 row_mask:0xf bank_mask:0xf// 000000007F50: 0A782EFA FF015125
	v_mov_b32_e32 v61, v60                                     // 000000007F58: 7E7A033C
	v_pk_mul_f32 v[168:169], v[60:61], v[168:169]              // 000000007F5C: D3B140A8 1803513C
	v_pk_mul_f32 v[170:171], v[60:61], v[170:171]              // 000000007F64: D3B140AA 1803553C
	v_pk_mul_f32 v[184:185], v[60:61], v[184:185]              // 000000007F6C: D3B140B8 1803713C
	v_pk_mul_f32 v[186:187], v[60:61], v[186:187]              // 000000007F74: D3B140BA 1803753C
	v_mul_f32_dpp v60, v37, v24 row_newbcast:0 row_mask:0xf bank_mask:0xf// 000000007F7C: 0A7830FA FF015025
	v_mov_b32_e32 v61, v60                                     // 000000007F84: 7E7A033C
	v_pk_mul_f32 v[140:141], v[60:61], v[140:141]              // 000000007F88: D3B1408C 1803193C
	v_pk_mul_f32 v[142:143], v[60:61], v[142:143]              // 000000007F90: D3B1408E 18031D3C
	v_pk_mul_f32 v[156:157], v[60:61], v[156:157]              // 000000007F98: D3B1409C 1803393C
	v_pk_mul_f32 v[158:159], v[60:61], v[158:159]              // 000000007FA0: D3B1409E 18033D3C
	v_mul_f32_dpp v60, v37, v24 row_newbcast:1 row_mask:0xf bank_mask:0xf// 000000007FA8: 0A7830FA FF015125
	v_mov_b32_e32 v61, v60                                     // 000000007FB0: 7E7A033C
	v_pk_mul_f32 v[172:173], v[60:61], v[172:173]              // 000000007FB4: D3B140AC 1803593C
	v_pk_mul_f32 v[174:175], v[60:61], v[174:175]              // 000000007FBC: D3B140AE 18035D3C
	v_pk_mul_f32 v[188:189], v[60:61], v[188:189]              // 000000007FC4: D3B140BC 1803793C
	v_pk_mul_f32 v[190:191], v[60:61], v[190:191]              // 000000007FCC: D3B140BE 18037D3C
	s_waitcnt vmcnt(13)                                        // 000000007FD4: BF8C0F7D
	v_mfma_f32_16x16x32_fp8_fp8 v[192:195], a[32:33], a[136:137], 0// 000000007FD8: D3F300C0 1A031120
	v_mfma_f32_16x16x32_fp8_fp8 v[192:195], a[34:35], a[138:139], v[192:195]// 000000007FE0: D3F300C0 1F031522
	v_mfma_f32_16x16x32_fp8_fp8 v[196:199], a[32:33], a[152:153], 0// 000000007FE8: D3F300C4 1A033120
	v_mfma_f32_16x16x32_fp8_fp8 v[196:199], a[34:35], a[154:155], v[196:199]// 000000007FF0: D3F300C4 1F133522
	v_mfma_f32_16x16x32_fp8_fp8 v[200:203], a[32:33], a[168:169], 0// 000000007FF8: D3F300C8 1A035120
	v_mfma_f32_16x16x32_fp8_fp8 v[200:203], a[34:35], a[170:171], v[200:203]// 000000008000: D3F300C8 1F235522
	v_mfma_f32_16x16x32_fp8_fp8 v[204:207], a[32:33], a[184:185], 0// 000000008008: D3F300CC 1A037120
	v_mfma_f32_16x16x32_fp8_fp8 v[204:207], a[34:35], a[186:187], v[204:207]// 000000008010: D3F300CC 1F337522
	v_mfma_f32_16x16x32_fp8_fp8 v[208:211], a[36:37], a[136:137], 0// 000000008018: D3F300D0 1A031124
	v_mfma_f32_16x16x32_fp8_fp8 v[208:211], a[38:39], a[138:139], v[208:211]// 000000008020: D3F300D0 1F431526
	v_mfma_f32_16x16x32_fp8_fp8 v[212:215], a[36:37], a[152:153], 0// 000000008028: D3F300D4 1A033124
	v_mfma_f32_16x16x32_fp8_fp8 v[212:215], a[38:39], a[154:155], v[212:215]// 000000008030: D3F300D4 1F533526
	v_mfma_f32_16x16x32_fp8_fp8 v[216:219], a[36:37], a[168:169], 0// 000000008038: D3F300D8 1A035124
	v_mfma_f32_16x16x32_fp8_fp8 v[216:219], a[38:39], a[170:171], v[216:219]// 000000008040: D3F300D8 1F635526
	v_mfma_f32_16x16x32_fp8_fp8 v[220:223], a[36:37], a[184:185], 0// 000000008048: D3F300DC 1A037124
	v_mfma_f32_16x16x32_fp8_fp8 v[220:223], a[38:39], a[186:187], v[220:223]// 000000008050: D3F300DC 1F737526
	s_waitcnt vmcnt(13)                                        // 000000008058: BF8C0F7D
	v_mfma_f32_16x16x32_fp8_fp8 v[224:227], a[40:41], a[136:137], 0// 00000000805C: D3F300E0 1A031128
	v_mfma_f32_16x16x32_fp8_fp8 v[224:227], a[42:43], a[138:139], v[224:227]// 000000008064: D3F300E0 1F83152A
	v_mfma_f32_16x16x32_fp8_fp8 v[228:231], a[40:41], a[152:153], 0// 00000000806C: D3F300E4 1A033128
	v_mfma_f32_16x16x32_fp8_fp8 v[228:231], a[42:43], a[154:155], v[228:231]// 000000008074: D3F300E4 1F93352A
	v_mfma_f32_16x16x32_fp8_fp8 v[232:235], a[40:41], a[168:169], 0// 00000000807C: D3F300E8 1A035128
	v_mfma_f32_16x16x32_fp8_fp8 v[232:235], a[42:43], a[170:171], v[232:235]// 000000008084: D3F300E8 1FA3552A
	v_mfma_f32_16x16x32_fp8_fp8 v[236:239], a[40:41], a[184:185], 0// 00000000808C: D3F300EC 1A037128
	v_mfma_f32_16x16x32_fp8_fp8 v[236:239], a[42:43], a[186:187], v[236:239]// 000000008094: D3F300EC 1FB3752A
	v_mfma_f32_16x16x32_fp8_fp8 v[240:243], a[44:45], a[136:137], 0// 00000000809C: D3F300F0 1A03112C
	v_mfma_f32_16x16x32_fp8_fp8 v[240:243], a[46:47], a[138:139], v[240:243]// 0000000080A4: D3F300F0 1FC3152E
	v_mfma_f32_16x16x32_fp8_fp8 v[244:247], a[44:45], a[152:153], 0// 0000000080AC: D3F300F4 1A03312C
	v_mfma_f32_16x16x32_fp8_fp8 v[244:247], a[46:47], a[154:155], v[244:247]// 0000000080B4: D3F300F4 1FD3352E
	v_mfma_f32_16x16x32_fp8_fp8 v[248:251], a[44:45], a[168:169], 0// 0000000080BC: D3F300F8 1A03512C
	v_mfma_f32_16x16x32_fp8_fp8 v[248:251], a[46:47], a[170:171], v[248:251]// 0000000080C4: D3F300F8 1FE3552E
	v_mfma_f32_16x16x32_fp8_fp8 v[252:255], a[44:45], a[184:185], 0// 0000000080CC: D3F300FC 1A03712C
	v_mfma_f32_16x16x32_fp8_fp8 v[252:255], a[46:47], a[186:187], v[252:255]// 0000000080D4: D3F300FC 1FF3752E
	s_waitcnt vmcnt(13)                                        // 0000000080DC: BF8C0F7D
	v_mfma_f32_16x16x32_fp8_fp8 v[192:195], a[48:49], a[140:141], v[192:195]// 0000000080E0: D3F300C0 1F031930
	v_mfma_f32_16x16x32_fp8_fp8 v[192:195], a[50:51], a[142:143], v[192:195]// 0000000080E8: D3F300C0 1F031D32
	v_mfma_f32_16x16x32_fp8_fp8 v[196:199], a[48:49], a[156:157], v[196:199]// 0000000080F0: D3F300C4 1F133930
	v_mfma_f32_16x16x32_fp8_fp8 v[196:199], a[50:51], a[158:159], v[196:199]// 0000000080F8: D3F300C4 1F133D32
	v_mfma_f32_16x16x32_fp8_fp8 v[200:203], a[48:49], a[172:173], v[200:203]// 000000008100: D3F300C8 1F235930
	v_mfma_f32_16x16x32_fp8_fp8 v[200:203], a[50:51], a[174:175], v[200:203]// 000000008108: D3F300C8 1F235D32
	v_mfma_f32_16x16x32_fp8_fp8 v[204:207], a[48:49], a[188:189], v[204:207]// 000000008110: D3F300CC 1F337930
	v_mfma_f32_16x16x32_fp8_fp8 v[204:207], a[50:51], a[190:191], v[204:207]// 000000008118: D3F300CC 1F337D32
	v_mfma_f32_16x16x32_fp8_fp8 v[208:211], a[52:53], a[140:141], v[208:211]// 000000008120: D3F300D0 1F431934
	v_mfma_f32_16x16x32_fp8_fp8 v[208:211], a[54:55], a[142:143], v[208:211]// 000000008128: D3F300D0 1F431D36
	v_mfma_f32_16x16x32_fp8_fp8 v[212:215], a[52:53], a[156:157], v[212:215]// 000000008130: D3F300D4 1F533934
	v_mfma_f32_16x16x32_fp8_fp8 v[212:215], a[54:55], a[158:159], v[212:215]// 000000008138: D3F300D4 1F533D36
	v_mfma_f32_16x16x32_fp8_fp8 v[216:219], a[52:53], a[172:173], v[216:219]// 000000008140: D3F300D8 1F635934
	v_mfma_f32_16x16x32_fp8_fp8 v[216:219], a[54:55], a[174:175], v[216:219]// 000000008148: D3F300D8 1F635D36
	v_mfma_f32_16x16x32_fp8_fp8 v[220:223], a[52:53], a[188:189], v[220:223]// 000000008150: D3F300DC 1F737934
	v_mfma_f32_16x16x32_fp8_fp8 v[220:223], a[54:55], a[190:191], v[220:223]// 000000008158: D3F300DC 1F737D36
	s_waitcnt vmcnt(13)                                        // 000000008160: BF8C0F7D
	v_mfma_f32_16x16x32_fp8_fp8 v[224:227], a[56:57], a[140:141], v[224:227]// 000000008164: D3F300E0 1F831938
	v_mfma_f32_16x16x32_fp8_fp8 v[224:227], a[58:59], a[142:143], v[224:227]// 00000000816C: D3F300E0 1F831D3A
	v_mfma_f32_16x16x32_fp8_fp8 v[228:231], a[56:57], a[156:157], v[228:231]// 000000008174: D3F300E4 1F933938
	v_mfma_f32_16x16x32_fp8_fp8 v[228:231], a[58:59], a[158:159], v[228:231]// 00000000817C: D3F300E4 1F933D3A
	v_mfma_f32_16x16x32_fp8_fp8 v[232:235], a[56:57], a[172:173], v[232:235]// 000000008184: D3F300E8 1FA35938
	v_mfma_f32_16x16x32_fp8_fp8 v[232:235], a[58:59], a[174:175], v[232:235]// 00000000818C: D3F300E8 1FA35D3A
	v_mfma_f32_16x16x32_fp8_fp8 v[236:239], a[56:57], a[188:189], v[236:239]// 000000008194: D3F300EC 1FB37938
	v_mfma_f32_16x16x32_fp8_fp8 v[236:239], a[58:59], a[190:191], v[236:239]// 00000000819C: D3F300EC 1FB37D3A
	v_mfma_f32_16x16x32_fp8_fp8 v[240:243], a[60:61], a[140:141], v[240:243]// 0000000081A4: D3F300F0 1FC3193C
	v_mfma_f32_16x16x32_fp8_fp8 v[240:243], a[62:63], a[142:143], v[240:243]// 0000000081AC: D3F300F0 1FC31D3E
	v_mfma_f32_16x16x32_fp8_fp8 v[244:247], a[60:61], a[156:157], v[244:247]// 0000000081B4: D3F300F4 1FD3393C
	v_mfma_f32_16x16x32_fp8_fp8 v[244:247], a[62:63], a[158:159], v[244:247]// 0000000081BC: D3F300F4 1FD33D3E
	v_mfma_f32_16x16x32_fp8_fp8 v[248:251], a[60:61], a[172:173], v[248:251]// 0000000081C4: D3F300F8 1FE3593C
	v_mfma_f32_16x16x32_fp8_fp8 v[248:251], a[62:63], a[174:175], v[248:251]// 0000000081CC: D3F300F8 1FE35D3E
	v_mfma_f32_16x16x32_fp8_fp8 v[252:255], a[60:61], a[188:189], v[252:255]// 0000000081D4: D3F300FC 1FF3793C
	v_mfma_f32_16x16x32_fp8_fp8 v[252:255], a[62:63], a[190:191], v[252:255]// 0000000081DC: D3F300FC 1FF37D3E
	v_mul_f32_dpp v60, v37, v25 row_newbcast:2 row_mask:0xf bank_mask:0xf// 0000000081E4: 0A7832FA FF015225
	v_mov_b32_e32 v61, v60                                     // 0000000081EC: 7E7A033C
	v_pk_fma_f32 v[128:129], v[192:193], v[60:61], v[128:129]  // 0000000081F0: D3B04080 1E0279C0
	v_pk_fma_f32 v[130:131], v[194:195], v[60:61], v[130:131]  // 0000000081F8: D3B04082 1E0A79C2
	v_pk_fma_f32 v[144:145], v[208:209], v[60:61], v[144:145]  // 000000008200: D3B04090 1E4279D0
	v_pk_fma_f32 v[146:147], v[210:211], v[60:61], v[146:147]  // 000000008208: D3B04092 1E4A79D2
	v_mul_f32_dpp v60, v37, v25 row_newbcast:3 row_mask:0xf bank_mask:0xf// 000000008210: 0A7832FA FF015325
	v_mov_b32_e32 v61, v60                                     // 000000008218: 7E7A033C
	v_pk_fma_f32 v[160:161], v[224:225], v[60:61], v[160:161]  // 00000000821C: D3B040A0 1E8279E0
	v_pk_fma_f32 v[162:163], v[226:227], v[60:61], v[162:163]  // 000000008224: D3B040A2 1E8A79E2
	v_pk_fma_f32 v[176:177], v[240:241], v[60:61], v[176:177]  // 00000000822C: D3B040B0 1EC279F0
	v_pk_fma_f32 v[178:179], v[242:243], v[60:61], v[178:179]  // 000000008234: D3B040B2 1ECA79F2
	v_mul_f32_dpp v60, v37, v26 row_newbcast:2 row_mask:0xf bank_mask:0xf// 00000000823C: 0A7834FA FF015225
	v_mov_b32_e32 v61, v60                                     // 000000008244: 7E7A033C
	v_pk_fma_f32 v[132:133], v[196:197], v[60:61], v[132:133]  // 000000008248: D3B04084 1E1279C4
	v_pk_fma_f32 v[134:135], v[198:199], v[60:61], v[134:135]  // 000000008250: D3B04086 1E1A79C6
	v_pk_fma_f32 v[148:149], v[212:213], v[60:61], v[148:149]  // 000000008258: D3B04094 1E5279D4
	v_pk_fma_f32 v[150:151], v[214:215], v[60:61], v[150:151]  // 000000008260: D3B04096 1E5A79D6
	v_mul_f32_dpp v60, v37, v26 row_newbcast:3 row_mask:0xf bank_mask:0xf// 000000008268: 0A7834FA FF015325
	v_mov_b32_e32 v61, v60                                     // 000000008270: 7E7A033C
	v_pk_fma_f32 v[164:165], v[228:229], v[60:61], v[164:165]  // 000000008274: D3B040A4 1E9279E4
	v_pk_fma_f32 v[166:167], v[230:231], v[60:61], v[166:167]  // 00000000827C: D3B040A6 1E9A79E6
	v_pk_fma_f32 v[180:181], v[244:245], v[60:61], v[180:181]  // 000000008284: D3B040B4 1ED279F4
	v_pk_fma_f32 v[182:183], v[246:247], v[60:61], v[182:183]  // 00000000828C: D3B040B6 1EDA79F6
	v_mul_f32_dpp v60, v37, v27 row_newbcast:2 row_mask:0xf bank_mask:0xf// 000000008294: 0A7836FA FF015225
	v_mov_b32_e32 v61, v60                                     // 00000000829C: 7E7A033C
	v_pk_fma_f32 v[136:137], v[200:201], v[60:61], v[136:137]  // 0000000082A0: D3B04088 1E2279C8
	v_pk_fma_f32 v[138:139], v[202:203], v[60:61], v[138:139]  // 0000000082A8: D3B0408A 1E2A79CA
	v_pk_fma_f32 v[152:153], v[216:217], v[60:61], v[152:153]  // 0000000082B0: D3B04098 1E6279D8
	v_pk_fma_f32 v[154:155], v[218:219], v[60:61], v[154:155]  // 0000000082B8: D3B0409A 1E6A79DA
	v_mul_f32_dpp v60, v37, v27 row_newbcast:3 row_mask:0xf bank_mask:0xf// 0000000082C0: 0A7836FA FF015325
	v_mov_b32_e32 v61, v60                                     // 0000000082C8: 7E7A033C
	v_pk_fma_f32 v[168:169], v[232:233], v[60:61], v[168:169]  // 0000000082CC: D3B040A8 1EA279E8
	v_pk_fma_f32 v[170:171], v[234:235], v[60:61], v[170:171]  // 0000000082D4: D3B040AA 1EAA79EA
	v_pk_fma_f32 v[184:185], v[248:249], v[60:61], v[184:185]  // 0000000082DC: D3B040B8 1EE279F8
	v_pk_fma_f32 v[186:187], v[250:251], v[60:61], v[186:187]  // 0000000082E4: D3B040BA 1EEA79FA
	v_mul_f32_dpp v60, v37, v28 row_newbcast:2 row_mask:0xf bank_mask:0xf// 0000000082EC: 0A7838FA FF015225
	v_mov_b32_e32 v61, v60                                     // 0000000082F4: 7E7A033C
	v_pk_fma_f32 v[140:141], v[204:205], v[60:61], v[140:141]  // 0000000082F8: D3B0408C 1E3279CC
	v_pk_fma_f32 v[142:143], v[206:207], v[60:61], v[142:143]  // 000000008300: D3B0408E 1E3A79CE
	v_pk_fma_f32 v[156:157], v[220:221], v[60:61], v[156:157]  // 000000008308: D3B0409C 1E7279DC
	v_pk_fma_f32 v[158:159], v[222:223], v[60:61], v[158:159]  // 000000008310: D3B0409E 1E7A79DE
	v_mul_f32_dpp v60, v37, v28 row_newbcast:3 row_mask:0xf bank_mask:0xf// 000000008318: 0A7838FA FF015325
	v_mov_b32_e32 v61, v60                                     // 000000008320: 7E7A033C
	v_pk_fma_f32 v[172:173], v[236:237], v[60:61], v[172:173]  // 000000008324: D3B040AC 1EB279EC
	v_pk_fma_f32 v[174:175], v[238:239], v[60:61], v[174:175]  // 00000000832C: D3B040AE 1EBA79EE
	v_pk_fma_f32 v[188:189], v[252:253], v[60:61], v[188:189]  // 000000008334: D3B040BC 1EF279FC
	v_pk_fma_f32 v[190:191], v[254:255], v[60:61], v[190:191]  // 00000000833C: D3B040BE 1EFA79FE
	s_add_u32 s56, 0x200, s76                                  // 000000008344: 80384CFF 00000200
	s_cmp_lt_u32 s56, s77                                      // 00000000834C: BF0A4D38
	s_cselect_b32 s52, s52, 0                                  // 000000008350: 85348034
	s_cselect_b32 s74, s74, 0                                  // 000000008354: 854A804A
	s_cselect_b32 s75, s75, 0                                  // 000000008358: 854B804B
	s_add_u32 s12, s52, s12                                    // 00000000835C: 800C0C34
	s_addc_u32 s13, 0, s13                                     // 000000008360: 820D0D80
	s_add_u32 s16, s75, s16                                    // 000000008364: 8010104B
	s_addc_u32 s17, 0, s17                                     // 000000008368: 82111180
	v_mov_b32_e32 v60, v39                                     // 00000000836C: 7E780327
	v_mov_b32_e32 v61, v39                                     // 000000008370: 7E7A0327
	v_pk_mul_f32 v[128:129], v[60:61], v[128:129]              // 000000008374: D3B14080 1803013C
	v_pk_mul_f32 v[130:131], v[60:61], v[130:131]              // 00000000837C: D3B14082 1803053C
	v_pk_mul_f32 v[144:145], v[60:61], v[144:145]              // 000000008384: D3B14090 1803213C
	v_pk_mul_f32 v[146:147], v[60:61], v[146:147]              // 00000000838C: D3B14092 1803253C
	v_pk_mul_f32 v[160:161], v[60:61], v[160:161]              // 000000008394: D3B140A0 1803413C
	v_pk_mul_f32 v[162:163], v[60:61], v[162:163]              // 00000000839C: D3B140A2 1803453C
	v_pk_mul_f32 v[176:177], v[60:61], v[176:177]              // 0000000083A4: D3B140B0 1803613C
	v_pk_mul_f32 v[178:179], v[60:61], v[178:179]              // 0000000083AC: D3B140B2 1803653C
	v_mov_b32_e32 v60, v40                                     // 0000000083B4: 7E780328
	v_mov_b32_e32 v61, v40                                     // 0000000083B8: 7E7A0328
	v_pk_mul_f32 v[132:133], v[60:61], v[132:133]              // 0000000083BC: D3B14084 1803093C
	v_pk_mul_f32 v[134:135], v[60:61], v[134:135]              // 0000000083C4: D3B14086 18030D3C
	v_pk_mul_f32 v[148:149], v[60:61], v[148:149]              // 0000000083CC: D3B14094 1803293C
	v_pk_mul_f32 v[150:151], v[60:61], v[150:151]              // 0000000083D4: D3B14096 18032D3C
	v_pk_mul_f32 v[164:165], v[60:61], v[164:165]              // 0000000083DC: D3B140A4 1803493C
	v_pk_mul_f32 v[166:167], v[60:61], v[166:167]              // 0000000083E4: D3B140A6 18034D3C
	v_pk_mul_f32 v[180:181], v[60:61], v[180:181]              // 0000000083EC: D3B140B4 1803693C
	v_pk_mul_f32 v[182:183], v[60:61], v[182:183]              // 0000000083F4: D3B140B6 18036D3C
	v_mov_b32_e32 v60, v41                                     // 0000000083FC: 7E780329
	v_mov_b32_e32 v61, v41                                     // 000000008400: 7E7A0329
	v_pk_mul_f32 v[136:137], v[60:61], v[136:137]              // 000000008404: D3B14088 1803113C
	v_pk_mul_f32 v[138:139], v[60:61], v[138:139]              // 00000000840C: D3B1408A 1803153C
	v_pk_mul_f32 v[152:153], v[60:61], v[152:153]              // 000000008414: D3B14098 1803313C
	v_pk_mul_f32 v[154:155], v[60:61], v[154:155]              // 00000000841C: D3B1409A 1803353C
	v_pk_mul_f32 v[168:169], v[60:61], v[168:169]              // 000000008424: D3B140A8 1803513C
	v_pk_mul_f32 v[170:171], v[60:61], v[170:171]              // 00000000842C: D3B140AA 1803553C
	v_pk_mul_f32 v[184:185], v[60:61], v[184:185]              // 000000008434: D3B140B8 1803713C
	v_pk_mul_f32 v[186:187], v[60:61], v[186:187]              // 00000000843C: D3B140BA 1803753C
	v_mov_b32_e32 v60, v42                                     // 000000008444: 7E78032A
	v_mov_b32_e32 v61, v42                                     // 000000008448: 7E7A032A
	v_pk_mul_f32 v[140:141], v[60:61], v[140:141]              // 00000000844C: D3B1408C 1803193C
	v_pk_mul_f32 v[142:143], v[60:61], v[142:143]              // 000000008454: D3B1408E 18031D3C
	v_pk_mul_f32 v[156:157], v[60:61], v[156:157]              // 00000000845C: D3B1409C 1803393C
	v_pk_mul_f32 v[158:159], v[60:61], v[158:159]              // 000000008464: D3B1409E 18033D3C
	v_pk_mul_f32 v[172:173], v[60:61], v[172:173]              // 00000000846C: D3B140AC 1803593C
	v_pk_mul_f32 v[174:175], v[60:61], v[174:175]              // 000000008474: D3B140AE 18035D3C
	v_pk_mul_f32 v[188:189], v[60:61], v[188:189]              // 00000000847C: D3B140BC 1803793C
	v_pk_mul_f32 v[190:191], v[60:61], v[190:191]              // 000000008484: D3B140BE 18037D3C
	s_mov_b32 s56, 0x7060302                                   // 00000000848C: BEB800FF 07060302
	v_cmp_u_f32_e64 s[48:49], v128, v128                       // 000000008494: D0480030 00030180
	v_add3_u32 v55, v128, v58, 1                               // 00000000849C: D1FF0037 02067580
	v_cndmask_b32_e64 v60, v55, v57, s[48:49]                  // 0000000084A4: D100003C 00C27337
	v_cmp_u_f32_e64 s[48:49], v129, v129                       // 0000000084AC: D0480030 00030381
	v_add3_u32 v55, v129, v58, 1                               // 0000000084B4: D1FF0037 02067581
	v_cndmask_b32_e64 v61, v55, v57, s[48:49]                  // 0000000084BC: D100003D 00C27337
	v_perm_b32 v128, v61, v60, s56                             // 0000000084C4: D1ED0080 00E2793D
	s_mov_b32 s56, 0x7060302                                   // 0000000084CC: BEB800FF 07060302
	v_cmp_u_f32_e64 s[48:49], v130, v130                       // 0000000084D4: D0480030 00030582
	v_add3_u32 v55, v130, v58, 1                               // 0000000084DC: D1FF0037 02067582
	v_cndmask_b32_e64 v60, v55, v57, s[48:49]                  // 0000000084E4: D100003C 00C27337
	v_cmp_u_f32_e64 s[48:49], v131, v131                       // 0000000084EC: D0480030 00030783
	v_add3_u32 v55, v131, v58, 1                               // 0000000084F4: D1FF0037 02067583
	v_cndmask_b32_e64 v61, v55, v57, s[48:49]                  // 0000000084FC: D100003D 00C27337
	v_perm_b32 v129, v61, v60, s56                             // 000000008504: D1ED0081 00E2793D
	s_mov_b32 s56, 0x7060302                                   // 00000000850C: BEB800FF 07060302
	v_cmp_u_f32_e64 s[48:49], v132, v132                       // 000000008514: D0480030 00030984
	v_add3_u32 v55, v132, v58, 1                               // 00000000851C: D1FF0037 02067584
	v_cndmask_b32_e64 v60, v55, v57, s[48:49]                  // 000000008524: D100003C 00C27337
	v_cmp_u_f32_e64 s[48:49], v133, v133                       // 00000000852C: D0480030 00030B85
	v_add3_u32 v55, v133, v58, 1                               // 000000008534: D1FF0037 02067585
	v_cndmask_b32_e64 v61, v55, v57, s[48:49]                  // 00000000853C: D100003D 00C27337
	v_perm_b32 v130, v61, v60, s56                             // 000000008544: D1ED0082 00E2793D
	s_mov_b32 s56, 0x7060302                                   // 00000000854C: BEB800FF 07060302
	v_cmp_u_f32_e64 s[48:49], v134, v134                       // 000000008554: D0480030 00030D86
	v_add3_u32 v55, v134, v58, 1                               // 00000000855C: D1FF0037 02067586
	v_cndmask_b32_e64 v60, v55, v57, s[48:49]                  // 000000008564: D100003C 00C27337
	v_cmp_u_f32_e64 s[48:49], v135, v135                       // 00000000856C: D0480030 00030F87
	v_add3_u32 v55, v135, v58, 1                               // 000000008574: D1FF0037 02067587
	v_cndmask_b32_e64 v61, v55, v57, s[48:49]                  // 00000000857C: D100003D 00C27337
	v_perm_b32 v131, v61, v60, s56                             // 000000008584: D1ED0083 00E2793D
	s_mov_b32 s56, 0x7060302                                   // 00000000858C: BEB800FF 07060302
	v_cmp_u_f32_e64 s[48:49], v136, v136                       // 000000008594: D0480030 00031188
	v_add3_u32 v55, v136, v58, 1                               // 00000000859C: D1FF0037 02067588
	v_cndmask_b32_e64 v60, v55, v57, s[48:49]                  // 0000000085A4: D100003C 00C27337
	v_cmp_u_f32_e64 s[48:49], v137, v137                       // 0000000085AC: D0480030 00031389
	v_add3_u32 v55, v137, v58, 1                               // 0000000085B4: D1FF0037 02067589
	v_cndmask_b32_e64 v61, v55, v57, s[48:49]                  // 0000000085BC: D100003D 00C27337
	v_perm_b32 v132, v61, v60, s56                             // 0000000085C4: D1ED0084 00E2793D
	s_mov_b32 s56, 0x7060302                                   // 0000000085CC: BEB800FF 07060302
	v_cmp_u_f32_e64 s[48:49], v138, v138                       // 0000000085D4: D0480030 0003158A
	v_add3_u32 v55, v138, v58, 1                               // 0000000085DC: D1FF0037 0206758A
	v_cndmask_b32_e64 v60, v55, v57, s[48:49]                  // 0000000085E4: D100003C 00C27337
	v_cmp_u_f32_e64 s[48:49], v139, v139                       // 0000000085EC: D0480030 0003178B
	v_add3_u32 v55, v139, v58, 1                               // 0000000085F4: D1FF0037 0206758B
	v_cndmask_b32_e64 v61, v55, v57, s[48:49]                  // 0000000085FC: D100003D 00C27337
	v_perm_b32 v133, v61, v60, s56                             // 000000008604: D1ED0085 00E2793D
	s_mov_b32 s56, 0x7060302                                   // 00000000860C: BEB800FF 07060302
	v_cmp_u_f32_e64 s[48:49], v140, v140                       // 000000008614: D0480030 0003198C
	v_add3_u32 v55, v140, v58, 1                               // 00000000861C: D1FF0037 0206758C
	v_cndmask_b32_e64 v60, v55, v57, s[48:49]                  // 000000008624: D100003C 00C27337
	v_cmp_u_f32_e64 s[48:49], v141, v141                       // 00000000862C: D0480030 00031B8D
	v_add3_u32 v55, v141, v58, 1                               // 000000008634: D1FF0037 0206758D
	v_cndmask_b32_e64 v61, v55, v57, s[48:49]                  // 00000000863C: D100003D 00C27337
	v_perm_b32 v134, v61, v60, s56                             // 000000008644: D1ED0086 00E2793D
	s_mov_b32 s56, 0x7060302                                   // 00000000864C: BEB800FF 07060302
	v_cmp_u_f32_e64 s[48:49], v142, v142                       // 000000008654: D0480030 00031D8E
	v_add3_u32 v55, v142, v58, 1                               // 00000000865C: D1FF0037 0206758E
	v_cndmask_b32_e64 v60, v55, v57, s[48:49]                  // 000000008664: D100003C 00C27337
	v_cmp_u_f32_e64 s[48:49], v143, v143                       // 00000000866C: D0480030 00031F8F
	v_add3_u32 v55, v143, v58, 1                               // 000000008674: D1FF0037 0206758F
	v_cndmask_b32_e64 v61, v55, v57, s[48:49]                  // 00000000867C: D100003D 00C27337
	v_perm_b32 v135, v61, v60, s56                             // 000000008684: D1ED0087 00E2793D
	s_mov_b32 s56, 0x7060302                                   // 00000000868C: BEB800FF 07060302
	v_cmp_u_f32_e64 s[48:49], v144, v144                       // 000000008694: D0480030 00032190
	v_add3_u32 v55, v144, v58, 1                               // 00000000869C: D1FF0037 02067590
	v_cndmask_b32_e64 v60, v55, v57, s[48:49]                  // 0000000086A4: D100003C 00C27337
	v_cmp_u_f32_e64 s[48:49], v145, v145                       // 0000000086AC: D0480030 00032391
	v_add3_u32 v55, v145, v58, 1                               // 0000000086B4: D1FF0037 02067591
	v_cndmask_b32_e64 v61, v55, v57, s[48:49]                  // 0000000086BC: D100003D 00C27337
	v_perm_b32 v136, v61, v60, s56                             // 0000000086C4: D1ED0088 00E2793D
	s_mov_b32 s56, 0x7060302                                   // 0000000086CC: BEB800FF 07060302
	v_cmp_u_f32_e64 s[48:49], v146, v146                       // 0000000086D4: D0480030 00032592
	v_add3_u32 v55, v146, v58, 1                               // 0000000086DC: D1FF0037 02067592
	v_cndmask_b32_e64 v60, v55, v57, s[48:49]                  // 0000000086E4: D100003C 00C27337
	v_cmp_u_f32_e64 s[48:49], v147, v147                       // 0000000086EC: D0480030 00032793
	v_add3_u32 v55, v147, v58, 1                               // 0000000086F4: D1FF0037 02067593
	v_cndmask_b32_e64 v61, v55, v57, s[48:49]                  // 0000000086FC: D100003D 00C27337
	v_perm_b32 v137, v61, v60, s56                             // 000000008704: D1ED0089 00E2793D
	s_mov_b32 s56, 0x7060302                                   // 00000000870C: BEB800FF 07060302
	v_cmp_u_f32_e64 s[48:49], v148, v148                       // 000000008714: D0480030 00032994
	v_add3_u32 v55, v148, v58, 1                               // 00000000871C: D1FF0037 02067594
	v_cndmask_b32_e64 v60, v55, v57, s[48:49]                  // 000000008724: D100003C 00C27337
	v_cmp_u_f32_e64 s[48:49], v149, v149                       // 00000000872C: D0480030 00032B95
	v_add3_u32 v55, v149, v58, 1                               // 000000008734: D1FF0037 02067595
	v_cndmask_b32_e64 v61, v55, v57, s[48:49]                  // 00000000873C: D100003D 00C27337
	v_perm_b32 v138, v61, v60, s56                             // 000000008744: D1ED008A 00E2793D
	s_mov_b32 s56, 0x7060302                                   // 00000000874C: BEB800FF 07060302
	v_cmp_u_f32_e64 s[48:49], v150, v150                       // 000000008754: D0480030 00032D96
	v_add3_u32 v55, v150, v58, 1                               // 00000000875C: D1FF0037 02067596
	v_cndmask_b32_e64 v60, v55, v57, s[48:49]                  // 000000008764: D100003C 00C27337
	v_cmp_u_f32_e64 s[48:49], v151, v151                       // 00000000876C: D0480030 00032F97
	v_add3_u32 v55, v151, v58, 1                               // 000000008774: D1FF0037 02067597
	v_cndmask_b32_e64 v61, v55, v57, s[48:49]                  // 00000000877C: D100003D 00C27337
	v_perm_b32 v139, v61, v60, s56                             // 000000008784: D1ED008B 00E2793D
	s_mov_b32 s56, 0x7060302                                   // 00000000878C: BEB800FF 07060302
	v_cmp_u_f32_e64 s[48:49], v152, v152                       // 000000008794: D0480030 00033198
	v_add3_u32 v55, v152, v58, 1                               // 00000000879C: D1FF0037 02067598
	v_cndmask_b32_e64 v60, v55, v57, s[48:49]                  // 0000000087A4: D100003C 00C27337
	v_cmp_u_f32_e64 s[48:49], v153, v153                       // 0000000087AC: D0480030 00033399
	v_add3_u32 v55, v153, v58, 1                               // 0000000087B4: D1FF0037 02067599
	v_cndmask_b32_e64 v61, v55, v57, s[48:49]                  // 0000000087BC: D100003D 00C27337
	v_perm_b32 v140, v61, v60, s56                             // 0000000087C4: D1ED008C 00E2793D
	s_mov_b32 s56, 0x7060302                                   // 0000000087CC: BEB800FF 07060302
	v_cmp_u_f32_e64 s[48:49], v154, v154                       // 0000000087D4: D0480030 0003359A
	v_add3_u32 v55, v154, v58, 1                               // 0000000087DC: D1FF0037 0206759A
	v_cndmask_b32_e64 v60, v55, v57, s[48:49]                  // 0000000087E4: D100003C 00C27337
	v_cmp_u_f32_e64 s[48:49], v155, v155                       // 0000000087EC: D0480030 0003379B
	v_add3_u32 v55, v155, v58, 1                               // 0000000087F4: D1FF0037 0206759B
	v_cndmask_b32_e64 v61, v55, v57, s[48:49]                  // 0000000087FC: D100003D 00C27337
	v_perm_b32 v141, v61, v60, s56                             // 000000008804: D1ED008D 00E2793D
	s_mov_b32 s56, 0x7060302                                   // 00000000880C: BEB800FF 07060302
	v_cmp_u_f32_e64 s[48:49], v156, v156                       // 000000008814: D0480030 0003399C
	v_add3_u32 v55, v156, v58, 1                               // 00000000881C: D1FF0037 0206759C
	v_cndmask_b32_e64 v60, v55, v57, s[48:49]                  // 000000008824: D100003C 00C27337
	v_cmp_u_f32_e64 s[48:49], v157, v157                       // 00000000882C: D0480030 00033B9D
	v_add3_u32 v55, v157, v58, 1                               // 000000008834: D1FF0037 0206759D
	v_cndmask_b32_e64 v61, v55, v57, s[48:49]                  // 00000000883C: D100003D 00C27337
	v_perm_b32 v142, v61, v60, s56                             // 000000008844: D1ED008E 00E2793D
	s_mov_b32 s56, 0x7060302                                   // 00000000884C: BEB800FF 07060302
	v_cmp_u_f32_e64 s[48:49], v158, v158                       // 000000008854: D0480030 00033D9E
	v_add3_u32 v55, v158, v58, 1                               // 00000000885C: D1FF0037 0206759E
	v_cndmask_b32_e64 v60, v55, v57, s[48:49]                  // 000000008864: D100003C 00C27337
	v_cmp_u_f32_e64 s[48:49], v159, v159                       // 00000000886C: D0480030 00033F9F
	v_add3_u32 v55, v159, v58, 1                               // 000000008874: D1FF0037 0206759F
	v_cndmask_b32_e64 v61, v55, v57, s[48:49]                  // 00000000887C: D100003D 00C27337
	v_perm_b32 v143, v61, v60, s56                             // 000000008884: D1ED008F 00E2793D
	s_mov_b32 s56, 0x7060302                                   // 00000000888C: BEB800FF 07060302
	v_cmp_u_f32_e64 s[48:49], v160, v160                       // 000000008894: D0480030 000341A0
	v_add3_u32 v55, v160, v58, 1                               // 00000000889C: D1FF0037 020675A0
	v_cndmask_b32_e64 v60, v55, v57, s[48:49]                  // 0000000088A4: D100003C 00C27337
	v_cmp_u_f32_e64 s[48:49], v161, v161                       // 0000000088AC: D0480030 000343A1
	v_add3_u32 v55, v161, v58, 1                               // 0000000088B4: D1FF0037 020675A1
	v_cndmask_b32_e64 v61, v55, v57, s[48:49]                  // 0000000088BC: D100003D 00C27337
	v_perm_b32 v144, v61, v60, s56                             // 0000000088C4: D1ED0090 00E2793D
	s_mov_b32 s56, 0x7060302                                   // 0000000088CC: BEB800FF 07060302
	v_cmp_u_f32_e64 s[48:49], v162, v162                       // 0000000088D4: D0480030 000345A2
	v_add3_u32 v55, v162, v58, 1                               // 0000000088DC: D1FF0037 020675A2
	v_cndmask_b32_e64 v60, v55, v57, s[48:49]                  // 0000000088E4: D100003C 00C27337
	v_cmp_u_f32_e64 s[48:49], v163, v163                       // 0000000088EC: D0480030 000347A3
	v_add3_u32 v55, v163, v58, 1                               // 0000000088F4: D1FF0037 020675A3
	v_cndmask_b32_e64 v61, v55, v57, s[48:49]                  // 0000000088FC: D100003D 00C27337
	v_perm_b32 v145, v61, v60, s56                             // 000000008904: D1ED0091 00E2793D
	s_mov_b32 s56, 0x7060302                                   // 00000000890C: BEB800FF 07060302
	v_cmp_u_f32_e64 s[48:49], v164, v164                       // 000000008914: D0480030 000349A4
	v_add3_u32 v55, v164, v58, 1                               // 00000000891C: D1FF0037 020675A4
	v_cndmask_b32_e64 v60, v55, v57, s[48:49]                  // 000000008924: D100003C 00C27337
	v_cmp_u_f32_e64 s[48:49], v165, v165                       // 00000000892C: D0480030 00034BA5
	v_add3_u32 v55, v165, v58, 1                               // 000000008934: D1FF0037 020675A5
	v_cndmask_b32_e64 v61, v55, v57, s[48:49]                  // 00000000893C: D100003D 00C27337
	v_perm_b32 v146, v61, v60, s56                             // 000000008944: D1ED0092 00E2793D
	s_mov_b32 s56, 0x7060302                                   // 00000000894C: BEB800FF 07060302
	v_cmp_u_f32_e64 s[48:49], v166, v166                       // 000000008954: D0480030 00034DA6
	v_add3_u32 v55, v166, v58, 1                               // 00000000895C: D1FF0037 020675A6
	v_cndmask_b32_e64 v60, v55, v57, s[48:49]                  // 000000008964: D100003C 00C27337
	v_cmp_u_f32_e64 s[48:49], v167, v167                       // 00000000896C: D0480030 00034FA7
	v_add3_u32 v55, v167, v58, 1                               // 000000008974: D1FF0037 020675A7
	v_cndmask_b32_e64 v61, v55, v57, s[48:49]                  // 00000000897C: D100003D 00C27337
	v_perm_b32 v147, v61, v60, s56                             // 000000008984: D1ED0093 00E2793D
	s_mov_b32 s56, 0x7060302                                   // 00000000898C: BEB800FF 07060302
	v_cmp_u_f32_e64 s[48:49], v168, v168                       // 000000008994: D0480030 000351A8
	v_add3_u32 v55, v168, v58, 1                               // 00000000899C: D1FF0037 020675A8
	v_cndmask_b32_e64 v60, v55, v57, s[48:49]                  // 0000000089A4: D100003C 00C27337
	v_cmp_u_f32_e64 s[48:49], v169, v169                       // 0000000089AC: D0480030 000353A9
	v_add3_u32 v55, v169, v58, 1                               // 0000000089B4: D1FF0037 020675A9
	v_cndmask_b32_e64 v61, v55, v57, s[48:49]                  // 0000000089BC: D100003D 00C27337
	v_perm_b32 v148, v61, v60, s56                             // 0000000089C4: D1ED0094 00E2793D
	s_mov_b32 s56, 0x7060302                                   // 0000000089CC: BEB800FF 07060302
	v_cmp_u_f32_e64 s[48:49], v170, v170                       // 0000000089D4: D0480030 000355AA
	v_add3_u32 v55, v170, v58, 1                               // 0000000089DC: D1FF0037 020675AA
	v_cndmask_b32_e64 v60, v55, v57, s[48:49]                  // 0000000089E4: D100003C 00C27337
	v_cmp_u_f32_e64 s[48:49], v171, v171                       // 0000000089EC: D0480030 000357AB
	v_add3_u32 v55, v171, v58, 1                               // 0000000089F4: D1FF0037 020675AB
	v_cndmask_b32_e64 v61, v55, v57, s[48:49]                  // 0000000089FC: D100003D 00C27337
	v_perm_b32 v149, v61, v60, s56                             // 000000008A04: D1ED0095 00E2793D
	s_mov_b32 s56, 0x7060302                                   // 000000008A0C: BEB800FF 07060302
	v_cmp_u_f32_e64 s[48:49], v172, v172                       // 000000008A14: D0480030 000359AC
	v_add3_u32 v55, v172, v58, 1                               // 000000008A1C: D1FF0037 020675AC
	v_cndmask_b32_e64 v60, v55, v57, s[48:49]                  // 000000008A24: D100003C 00C27337
	v_cmp_u_f32_e64 s[48:49], v173, v173                       // 000000008A2C: D0480030 00035BAD
	v_add3_u32 v55, v173, v58, 1                               // 000000008A34: D1FF0037 020675AD
	v_cndmask_b32_e64 v61, v55, v57, s[48:49]                  // 000000008A3C: D100003D 00C27337
	v_perm_b32 v150, v61, v60, s56                             // 000000008A44: D1ED0096 00E2793D
	s_mov_b32 s56, 0x7060302                                   // 000000008A4C: BEB800FF 07060302
	v_cmp_u_f32_e64 s[48:49], v174, v174                       // 000000008A54: D0480030 00035DAE
	v_add3_u32 v55, v174, v58, 1                               // 000000008A5C: D1FF0037 020675AE
	v_cndmask_b32_e64 v60, v55, v57, s[48:49]                  // 000000008A64: D100003C 00C27337
	v_cmp_u_f32_e64 s[48:49], v175, v175                       // 000000008A6C: D0480030 00035FAF
	v_add3_u32 v55, v175, v58, 1                               // 000000008A74: D1FF0037 020675AF
	v_cndmask_b32_e64 v61, v55, v57, s[48:49]                  // 000000008A7C: D100003D 00C27337
	v_perm_b32 v151, v61, v60, s56                             // 000000008A84: D1ED0097 00E2793D
	s_mov_b32 s56, 0x7060302                                   // 000000008A8C: BEB800FF 07060302
	v_cmp_u_f32_e64 s[48:49], v176, v176                       // 000000008A94: D0480030 000361B0
	v_add3_u32 v55, v176, v58, 1                               // 000000008A9C: D1FF0037 020675B0
	v_cndmask_b32_e64 v60, v55, v57, s[48:49]                  // 000000008AA4: D100003C 00C27337
	v_cmp_u_f32_e64 s[48:49], v177, v177                       // 000000008AAC: D0480030 000363B1
	v_add3_u32 v55, v177, v58, 1                               // 000000008AB4: D1FF0037 020675B1
	v_cndmask_b32_e64 v61, v55, v57, s[48:49]                  // 000000008ABC: D100003D 00C27337
	v_perm_b32 v152, v61, v60, s56                             // 000000008AC4: D1ED0098 00E2793D
	s_mov_b32 s56, 0x7060302                                   // 000000008ACC: BEB800FF 07060302
	v_cmp_u_f32_e64 s[48:49], v178, v178                       // 000000008AD4: D0480030 000365B2
	v_add3_u32 v55, v178, v58, 1                               // 000000008ADC: D1FF0037 020675B2
	v_cndmask_b32_e64 v60, v55, v57, s[48:49]                  // 000000008AE4: D100003C 00C27337
	v_cmp_u_f32_e64 s[48:49], v179, v179                       // 000000008AEC: D0480030 000367B3
	v_add3_u32 v55, v179, v58, 1                               // 000000008AF4: D1FF0037 020675B3
	v_cndmask_b32_e64 v61, v55, v57, s[48:49]                  // 000000008AFC: D100003D 00C27337
	v_perm_b32 v153, v61, v60, s56                             // 000000008B04: D1ED0099 00E2793D
	s_mov_b32 s56, 0x7060302                                   // 000000008B0C: BEB800FF 07060302
	v_cmp_u_f32_e64 s[48:49], v180, v180                       // 000000008B14: D0480030 000369B4
	v_add3_u32 v55, v180, v58, 1                               // 000000008B1C: D1FF0037 020675B4
	v_cndmask_b32_e64 v60, v55, v57, s[48:49]                  // 000000008B24: D100003C 00C27337
	v_cmp_u_f32_e64 s[48:49], v181, v181                       // 000000008B2C: D0480030 00036BB5
	v_add3_u32 v55, v181, v58, 1                               // 000000008B34: D1FF0037 020675B5
	v_cndmask_b32_e64 v61, v55, v57, s[48:49]                  // 000000008B3C: D100003D 00C27337
	v_perm_b32 v154, v61, v60, s56                             // 000000008B44: D1ED009A 00E2793D
	s_mov_b32 s56, 0x7060302                                   // 000000008B4C: BEB800FF 07060302
	v_cmp_u_f32_e64 s[48:49], v182, v182                       // 000000008B54: D0480030 00036DB6
	v_add3_u32 v55, v182, v58, 1                               // 000000008B5C: D1FF0037 020675B6
	v_cndmask_b32_e64 v60, v55, v57, s[48:49]                  // 000000008B64: D100003C 00C27337
	v_cmp_u_f32_e64 s[48:49], v183, v183                       // 000000008B6C: D0480030 00036FB7
	v_add3_u32 v55, v183, v58, 1                               // 000000008B74: D1FF0037 020675B7
	v_cndmask_b32_e64 v61, v55, v57, s[48:49]                  // 000000008B7C: D100003D 00C27337
	v_perm_b32 v155, v61, v60, s56                             // 000000008B84: D1ED009B 00E2793D
	s_mov_b32 s56, 0x7060302                                   // 000000008B8C: BEB800FF 07060302
	v_cmp_u_f32_e64 s[48:49], v184, v184                       // 000000008B94: D0480030 000371B8
	v_add3_u32 v55, v184, v58, 1                               // 000000008B9C: D1FF0037 020675B8
	v_cndmask_b32_e64 v60, v55, v57, s[48:49]                  // 000000008BA4: D100003C 00C27337
	v_cmp_u_f32_e64 s[48:49], v185, v185                       // 000000008BAC: D0480030 000373B9
	v_add3_u32 v55, v185, v58, 1                               // 000000008BB4: D1FF0037 020675B9
	v_cndmask_b32_e64 v61, v55, v57, s[48:49]                  // 000000008BBC: D100003D 00C27337
	v_perm_b32 v156, v61, v60, s56                             // 000000008BC4: D1ED009C 00E2793D
	s_mov_b32 s56, 0x7060302                                   // 000000008BCC: BEB800FF 07060302
	v_cmp_u_f32_e64 s[48:49], v186, v186                       // 000000008BD4: D0480030 000375BA
	v_add3_u32 v55, v186, v58, 1                               // 000000008BDC: D1FF0037 020675BA
	v_cndmask_b32_e64 v60, v55, v57, s[48:49]                  // 000000008BE4: D100003C 00C27337
	v_cmp_u_f32_e64 s[48:49], v187, v187                       // 000000008BEC: D0480030 000377BB
	v_add3_u32 v55, v187, v58, 1                               // 000000008BF4: D1FF0037 020675BB
	v_cndmask_b32_e64 v61, v55, v57, s[48:49]                  // 000000008BFC: D100003D 00C27337
	v_perm_b32 v157, v61, v60, s56                             // 000000008C04: D1ED009D 00E2793D
	s_mov_b32 s56, 0x7060302                                   // 000000008C0C: BEB800FF 07060302
	v_cmp_u_f32_e64 s[48:49], v188, v188                       // 000000008C14: D0480030 000379BC
	v_add3_u32 v55, v188, v58, 1                               // 000000008C1C: D1FF0037 020675BC
	v_cndmask_b32_e64 v60, v55, v57, s[48:49]                  // 000000008C24: D100003C 00C27337
	v_cmp_u_f32_e64 s[48:49], v189, v189                       // 000000008C2C: D0480030 00037BBD
	v_add3_u32 v55, v189, v58, 1                               // 000000008C34: D1FF0037 020675BD
	v_cndmask_b32_e64 v61, v55, v57, s[48:49]                  // 000000008C3C: D100003D 00C27337
	v_perm_b32 v158, v61, v60, s56                             // 000000008C44: D1ED009E 00E2793D
	s_mov_b32 s56, 0x7060302                                   // 000000008C4C: BEB800FF 07060302
	v_cmp_u_f32_e64 s[48:49], v190, v190                       // 000000008C54: D0480030 00037DBE
	v_add3_u32 v55, v190, v58, 1                               // 000000008C5C: D1FF0037 020675BE
	v_cndmask_b32_e64 v60, v55, v57, s[48:49]                  // 000000008C64: D100003C 00C27337
	v_cmp_u_f32_e64 s[48:49], v191, v191                       // 000000008C6C: D0480030 00037FBF
	v_add3_u32 v55, v191, v58, 1                               // 000000008C74: D1FF0037 020675BF
	v_cndmask_b32_e64 v61, v55, v57, s[48:49]                  // 000000008C7C: D100003D 00C27337
	v_perm_b32 v159, v61, v60, s56                             // 000000008C84: D1ED009F 00E2793D
	ds_write_b64 v4, v[128:129]                                // 000000008C8C: D89A0000 00008004
	ds_write_b64 v4, v[130:131] offset:8704                    // 000000008C94: D89A2200 00008204
	ds_write_b64 v5, v[132:133]                                // 000000008C9C: D89A0000 00008405
	ds_write_b64 v5, v[134:135] offset:8704                    // 000000008CA4: D89A2200 00008605
	ds_write_b64 v4, v[136:137] offset:2176                    // 000000008CAC: D89A0880 00008804
	ds_write_b64 v4, v[138:139] offset:10880                   // 000000008CB4: D89A2A80 00008A04
	ds_write_b64 v5, v[140:141] offset:2176                    // 000000008CBC: D89A0880 00008C05
	ds_write_b64 v5, v[142:143] offset:10880                   // 000000008CC4: D89A2A80 00008E05
	ds_write_b64 v4, v[144:145] offset:4352                    // 000000008CCC: D89A1100 00009004
	ds_write_b64 v4, v[146:147] offset:13056                   // 000000008CD4: D89A3300 00009204
	ds_write_b64 v5, v[148:149] offset:4352                    // 000000008CDC: D89A1100 00009405
	ds_write_b64 v5, v[150:151] offset:13056                   // 000000008CE4: D89A3300 00009605
	ds_write_b64 v4, v[152:153] offset:6528                    // 000000008CEC: D89A1980 00009804
	ds_write_b64 v4, v[154:155] offset:15232                   // 000000008CF4: D89A3B80 00009A04
	ds_write_b64 v5, v[156:157] offset:6528                    // 000000008CFC: D89A1980 00009C05
	ds_write_b64 v5, v[158:159] offset:15232                   // 000000008D04: D89A3B80 00009E05
	s_waitcnt lgkmcnt(0)                                       // 000000008D0C: BF8CC07F
	s_barrier                                                  // 000000008D10: BF8A0000
	ds_read_b32 v64, v6                                        // 000000008D14: D86C0000 40000006
	ds_read_b32 v65, v6 offset:4352                            // 000000008D1C: D86C1100 41000006
	ds_read_b32 v66, v6 offset:32                              // 000000008D24: D86C0020 42000006
	ds_read_b32 v67, v6 offset:4384                            // 000000008D2C: D86C1120 43000006
	ds_read_b32 v68, v6 offset:64                              // 000000008D34: D86C0040 44000006
	ds_read_b32 v69, v6 offset:4416                            // 000000008D3C: D86C1140 45000006
	ds_read_b32 v70, v6 offset:96                              // 000000008D44: D86C0060 46000006
	ds_read_b32 v71, v6 offset:4448                            // 000000008D4C: D86C1160 47000006
	ds_read_b32 v72, v6 offset:8704                            // 000000008D54: D86C2200 48000006
	ds_read_b32 v73, v6 offset:13056                           // 000000008D5C: D86C3300 49000006
	ds_read_b32 v74, v6 offset:8736                            // 000000008D64: D86C2220 4A000006
	ds_read_b32 v75, v6 offset:13088                           // 000000008D6C: D86C3320 4B000006
	ds_read_b32 v76, v6 offset:8768                            // 000000008D74: D86C2240 4C000006
	ds_read_b32 v77, v6 offset:13120                           // 000000008D7C: D86C3340 4D000006
	ds_read_b32 v78, v6 offset:8800                            // 000000008D84: D86C2260 4E000006
	ds_read_b32 v79, v6 offset:13152                           // 000000008D8C: D86C3360 4F000006
	ds_read_b32 v80, v7                                        // 000000008D94: D86C0000 50000007
	ds_read_b32 v81, v7 offset:4352                            // 000000008D9C: D86C1100 51000007
	ds_read_b32 v82, v7 offset:32                              // 000000008DA4: D86C0020 52000007
	ds_read_b32 v83, v7 offset:4384                            // 000000008DAC: D86C1120 53000007
	ds_read_b32 v84, v7 offset:64                              // 000000008DB4: D86C0040 54000007
	ds_read_b32 v85, v7 offset:4416                            // 000000008DBC: D86C1140 55000007
	ds_read_b32 v86, v7 offset:96                              // 000000008DC4: D86C0060 56000007
	ds_read_b32 v87, v7 offset:4448                            // 000000008DCC: D86C1160 57000007
	ds_read_b32 v88, v7 offset:8704                            // 000000008DD4: D86C2200 58000007
	ds_read_b32 v89, v7 offset:13056                           // 000000008DDC: D86C3300 59000007
	ds_read_b32 v90, v7 offset:8736                            // 000000008DE4: D86C2220 5A000007
	ds_read_b32 v91, v7 offset:13088                           // 000000008DEC: D86C3320 5B000007
	ds_read_b32 v92, v7 offset:8768                            // 000000008DF4: D86C2240 5C000007
	ds_read_b32 v93, v7 offset:13120                           // 000000008DFC: D86C3340 5D000007
	ds_read_b32 v94, v7 offset:8800                            // 000000008E04: D86C2260 5E000007
	ds_read_b32 v95, v7 offset:13152                           // 000000008E0C: D86C3360 5F000007
	s_waitcnt lgkmcnt(0)                                       // 000000008E14: BF8CC07F
	s_setvskip s20, 0                                          // 000000008E18: BF108014
	global_atomic_pk_add_bf16 v96, v64, s[8:9]                 // 000000008E1C: DD488000 00084060
	s_setvskip 0, 0                                            // 000000008E24: BF108080
	s_setvskip s20, 0                                          // 000000008E28: BF108014
	global_atomic_pk_add_bf16 v96, v65, s[8:9] offset:256      // 000000008E2C: DD488100 00084160
	s_setvskip 0, 0                                            // 000000008E34: BF108080
	s_setvskip s20, 1                                          // 000000008E38: BF108114
	global_atomic_pk_add_bf16 v98, v66, s[8:9]                 // 000000008E3C: DD488000 00084262
	s_setvskip 0, 0                                            // 000000008E44: BF108080
	s_setvskip s20, 1                                          // 000000008E48: BF108114
	global_atomic_pk_add_bf16 v98, v67, s[8:9] offset:256      // 000000008E4C: DD488100 00084362
	s_setvskip 0, 0                                            // 000000008E54: BF108080
	s_setvskip s20, 2                                          // 000000008E58: BF108214
	global_atomic_pk_add_bf16 v100, v68, s[8:9]                // 000000008E5C: DD488000 00084464
	s_setvskip 0, 0                                            // 000000008E64: BF108080
	s_setvskip s20, 2                                          // 000000008E68: BF108214
	global_atomic_pk_add_bf16 v100, v69, s[8:9] offset:256     // 000000008E6C: DD488100 00084564
	s_setvskip 0, 0                                            // 000000008E74: BF108080
	s_setvskip s20, 3                                          // 000000008E78: BF108314
	global_atomic_pk_add_bf16 v102, v70, s[8:9]                // 000000008E7C: DD488000 00084666
	s_setvskip 0, 0                                            // 000000008E84: BF108080
	s_setvskip s20, 3                                          // 000000008E88: BF108314
	global_atomic_pk_add_bf16 v102, v71, s[8:9] offset:256     // 000000008E8C: DD488100 00084766
	s_setvskip 0, 0                                            // 000000008E94: BF108080
	s_setvskip s20, 4                                          // 000000008E98: BF108414
	global_atomic_pk_add_bf16 v104, v72, s[8:9]                // 000000008E9C: DD488000 00084868
	s_setvskip 0, 0                                            // 000000008EA4: BF108080
	s_setvskip s20, 4                                          // 000000008EA8: BF108414
	global_atomic_pk_add_bf16 v104, v73, s[8:9] offset:256     // 000000008EAC: DD488100 00084968
	s_setvskip 0, 0                                            // 000000008EB4: BF108080
	s_setvskip s20, 5                                          // 000000008EB8: BF108514
	global_atomic_pk_add_bf16 v106, v74, s[8:9]                // 000000008EBC: DD488000 00084A6A
	s_setvskip 0, 0                                            // 000000008EC4: BF108080
	s_setvskip s20, 5                                          // 000000008EC8: BF108514
	global_atomic_pk_add_bf16 v106, v75, s[8:9] offset:256     // 000000008ECC: DD488100 00084B6A
	s_setvskip 0, 0                                            // 000000008ED4: BF108080
	s_setvskip s20, 6                                          // 000000008ED8: BF108614
	global_atomic_pk_add_bf16 v108, v76, s[8:9]                // 000000008EDC: DD488000 00084C6C
	s_setvskip 0, 0                                            // 000000008EE4: BF108080
	s_setvskip s20, 6                                          // 000000008EE8: BF108614
	global_atomic_pk_add_bf16 v108, v77, s[8:9] offset:256     // 000000008EEC: DD488100 00084D6C
	s_setvskip 0, 0                                            // 000000008EF4: BF108080
	s_setvskip s20, 7                                          // 000000008EF8: BF108714
	global_atomic_pk_add_bf16 v110, v78, s[8:9]                // 000000008EFC: DD488000 00084E6E
	s_setvskip 0, 0                                            // 000000008F04: BF108080
	s_setvskip s20, 7                                          // 000000008F08: BF108714
	global_atomic_pk_add_bf16 v110, v79, s[8:9] offset:256     // 000000008F0C: DD488100 00084F6E
	s_setvskip 0, 0                                            // 000000008F14: BF108080
	s_setvskip s20, 8                                          // 000000008F18: BF108814
	global_atomic_pk_add_bf16 v112, v80, s[8:9]                // 000000008F1C: DD488000 00085070
	s_setvskip 0, 0                                            // 000000008F24: BF108080
	s_setvskip s20, 8                                          // 000000008F28: BF108814
	global_atomic_pk_add_bf16 v112, v81, s[8:9] offset:256     // 000000008F2C: DD488100 00085170
	s_setvskip 0, 0                                            // 000000008F34: BF108080
	s_setvskip s20, 9                                          // 000000008F38: BF108914
	global_atomic_pk_add_bf16 v114, v82, s[8:9]                // 000000008F3C: DD488000 00085272
	s_setvskip 0, 0                                            // 000000008F44: BF108080
	s_setvskip s20, 9                                          // 000000008F48: BF108914
	global_atomic_pk_add_bf16 v114, v83, s[8:9] offset:256     // 000000008F4C: DD488100 00085372
	s_setvskip 0, 0                                            // 000000008F54: BF108080
	s_setvskip s20, 10                                         // 000000008F58: BF108A14
	global_atomic_pk_add_bf16 v116, v84, s[8:9]                // 000000008F5C: DD488000 00085474
	s_setvskip 0, 0                                            // 000000008F64: BF108080
	s_setvskip s20, 10                                         // 000000008F68: BF108A14
	global_atomic_pk_add_bf16 v116, v85, s[8:9] offset:256     // 000000008F6C: DD488100 00085574
	s_setvskip 0, 0                                            // 000000008F74: BF108080
	s_setvskip s20, 11                                         // 000000008F78: BF108B14
	global_atomic_pk_add_bf16 v118, v86, s[8:9]                // 000000008F7C: DD488000 00085676
	s_setvskip 0, 0                                            // 000000008F84: BF108080
	s_setvskip s20, 11                                         // 000000008F88: BF108B14
	global_atomic_pk_add_bf16 v118, v87, s[8:9] offset:256     // 000000008F8C: DD488100 00085776
	s_setvskip 0, 0                                            // 000000008F94: BF108080
	s_setvskip s20, 12                                         // 000000008F98: BF108C14
	global_atomic_pk_add_bf16 v120, v88, s[8:9]                // 000000008F9C: DD488000 00085878
	s_setvskip 0, 0                                            // 000000008FA4: BF108080
	s_setvskip s20, 12                                         // 000000008FA8: BF108C14
	global_atomic_pk_add_bf16 v120, v89, s[8:9] offset:256     // 000000008FAC: DD488100 00085978
	s_setvskip 0, 0                                            // 000000008FB4: BF108080
	s_setvskip s20, 13                                         // 000000008FB8: BF108D14
	global_atomic_pk_add_bf16 v122, v90, s[8:9]                // 000000008FBC: DD488000 00085A7A
	s_setvskip 0, 0                                            // 000000008FC4: BF108080
	s_setvskip s20, 13                                         // 000000008FC8: BF108D14
	global_atomic_pk_add_bf16 v122, v91, s[8:9] offset:256     // 000000008FCC: DD488100 00085B7A
	s_setvskip 0, 0                                            // 000000008FD4: BF108080
	s_setvskip s20, 14                                         // 000000008FD8: BF108E14
	global_atomic_pk_add_bf16 v124, v92, s[8:9]                // 000000008FDC: DD488000 00085C7C
	s_setvskip 0, 0                                            // 000000008FE4: BF108080
	s_setvskip s20, 14                                         // 000000008FE8: BF108E14
	global_atomic_pk_add_bf16 v124, v93, s[8:9] offset:256     // 000000008FEC: DD488100 00085D7C
	s_setvskip 0, 0                                            // 000000008FF4: BF108080
	s_setvskip s20, 15                                         // 000000008FF8: BF108F14
	global_atomic_pk_add_bf16 v126, v94, s[8:9]                // 000000008FFC: DD488000 00085E7E
	s_setvskip 0, 0                                            // 000000009004: BF108080
	s_setvskip s20, 15                                         // 000000009008: BF108F14
	global_atomic_pk_add_bf16 v126, v95, s[8:9] offset:256     // 00000000900C: DD488100 00085F7E
	s_setvskip 0, 0                                            // 000000009014: BF108080
	s_add_u32 s8, s55, s8                                      // 000000009018: 80080837
	s_addc_u32 s9, 0, s9                                       // 00000000901C: 82090980
	s_addk_i32 s76, 0x100                                      // 000000009020: B74C0100
	s_cmp_lt_i32 s76, s77                                      // 000000009024: BF044D4C
	s_cbranch_scc0 label_1DA7                                  // 000000009028: BF84051C
	s_waitcnt vmcnt(12)                                        // 00000000902C: BF8C0F7C
	s_barrier                                                  // 000000009030: BF8A0000
	v_mfma_f32_16x16x32_fp8_fp8 v[192:195], a[64:65], a[128:129], 0// 000000009034: D3F300C0 1A030140
	v_mfma_f32_16x16x32_fp8_fp8 v[192:195], a[66:67], a[130:131], v[192:195]// 00000000903C: D3F300C0 1F030542
	buffer_load_dwordx4 a[0:3], v51, s[12:15], 0 offen         // 000000009044: E05C1000 80830033
	v_mfma_f32_16x16x32_fp8_fp8 v[196:199], a[64:65], a[144:145], 0// 00000000904C: D3F300C4 1A032140
	v_mfma_f32_16x16x32_fp8_fp8 v[196:199], a[66:67], a[146:147], v[196:199]// 000000009054: D3F300C4 1F132542
	buffer_load_dword v37, v8, s[16:19], 0 offen               // 00000000905C: E0501000 80042508
	v_mfma_f32_16x16x32_fp8_fp8 v[200:203], a[64:65], a[160:161], 0// 000000009064: D3F300C8 1A034140
	v_mfma_f32_16x16x32_fp8_fp8 v[200:203], a[66:67], a[162:163], v[200:203]// 00000000906C: D3F300C8 1F234542
	buffer_load_dwordx4 a[4:7], v52, s[12:15], 0 offen         // 000000009074: E05C1000 80830434
	v_mfma_f32_16x16x32_fp8_fp8 v[204:207], a[64:65], a[176:177], 0// 00000000907C: D3F300CC 1A036140
	v_mfma_f32_16x16x32_fp8_fp8 v[204:207], a[66:67], a[178:179], v[204:207]// 000000009084: D3F300CC 1F336542
	v_mfma_f32_16x16x32_fp8_fp8 v[208:211], a[68:69], a[128:129], 0// 00000000908C: D3F300D0 1A030144
	v_mfma_f32_16x16x32_fp8_fp8 v[208:211], a[70:71], a[130:131], v[208:211]// 000000009094: D3F300D0 1F430546
	buffer_load_dwordx4 a[8:11], v53, s[12:15], 0 offen        // 00000000909C: E05C1000 80830835
	v_mfma_f32_16x16x32_fp8_fp8 v[212:215], a[68:69], a[144:145], 0// 0000000090A4: D3F300D4 1A032144
	v_mfma_f32_16x16x32_fp8_fp8 v[212:215], a[70:71], a[146:147], v[212:215]// 0000000090AC: D3F300D4 1F532546
	v_mfma_f32_16x16x32_fp8_fp8 v[216:219], a[68:69], a[160:161], 0// 0000000090B4: D3F300D8 1A034144
	v_mfma_f32_16x16x32_fp8_fp8 v[216:219], a[70:71], a[162:163], v[216:219]// 0000000090BC: D3F300D8 1F634546
	buffer_load_dwordx4 a[12:15], v54, s[12:15], 0 offen       // 0000000090C4: E05C1000 80830C36
	s_add_u32 s12, s74, s12                                    // 0000000090CC: 800C0C4A
	s_addc_u32 s13, 0, s13                                     // 0000000090D0: 820D0D80
	v_mfma_f32_16x16x32_fp8_fp8 v[220:223], a[68:69], a[176:177], 0// 0000000090D4: D3F300DC 1A036144
	v_mfma_f32_16x16x32_fp8_fp8 v[220:223], a[70:71], a[178:179], v[220:223]// 0000000090DC: D3F300DC 1F736546
	s_waitcnt vmcnt(13)                                        // 0000000090E4: BF8C0F7D
	v_mfma_f32_16x16x32_fp8_fp8 v[224:227], a[72:73], a[128:129], 0// 0000000090E8: D3F300E0 1A030148
	v_mfma_f32_16x16x32_fp8_fp8 v[224:227], a[74:75], a[130:131], v[224:227]// 0000000090F0: D3F300E0 1F83054A
	buffer_load_dwordx4 a[16:19], v51, s[12:15], 0 offen       // 0000000090F8: E05C1000 80831033
	v_mfma_f32_16x16x32_fp8_fp8 v[228:231], a[72:73], a[144:145], 0// 000000009100: D3F300E4 1A032148
	v_mfma_f32_16x16x32_fp8_fp8 v[228:231], a[74:75], a[146:147], v[228:231]// 000000009108: D3F300E4 1F93254A
	v_mfma_f32_16x16x32_fp8_fp8 v[232:235], a[72:73], a[160:161], 0// 000000009110: D3F300E8 1A034148
	v_mfma_f32_16x16x32_fp8_fp8 v[232:235], a[74:75], a[162:163], v[232:235]// 000000009118: D3F300E8 1FA3454A
	buffer_load_dwordx4 a[20:23], v52, s[12:15], 0 offen       // 000000009120: E05C1000 80831434
	v_mfma_f32_16x16x32_fp8_fp8 v[236:239], a[72:73], a[176:177], 0// 000000009128: D3F300EC 1A036148
	v_mfma_f32_16x16x32_fp8_fp8 v[236:239], a[74:75], a[178:179], v[236:239]// 000000009130: D3F300EC 1FB3654A
	v_mfma_f32_16x16x32_fp8_fp8 v[240:243], a[76:77], a[128:129], 0// 000000009138: D3F300F0 1A03014C
	v_mfma_f32_16x16x32_fp8_fp8 v[240:243], a[78:79], a[130:131], v[240:243]// 000000009140: D3F300F0 1FC3054E
	buffer_load_dwordx4 a[24:27], v53, s[12:15], 0 offen       // 000000009148: E05C1000 80831835
	v_mfma_f32_16x16x32_fp8_fp8 v[244:247], a[76:77], a[144:145], 0// 000000009150: D3F300F4 1A03214C
	v_mfma_f32_16x16x32_fp8_fp8 v[244:247], a[78:79], a[146:147], v[244:247]// 000000009158: D3F300F4 1FD3254E
	v_mfma_f32_16x16x32_fp8_fp8 v[248:251], a[76:77], a[160:161], 0// 000000009160: D3F300F8 1A03414C
	v_mfma_f32_16x16x32_fp8_fp8 v[248:251], a[78:79], a[162:163], v[248:251]// 000000009168: D3F300F8 1FE3454E
	buffer_load_dwordx4 a[28:31], v54, s[12:15], 0 offen       // 000000009170: E05C1000 80831C36
	s_add_u32 s12, s74, s12                                    // 000000009178: 800C0C4A
	s_addc_u32 s13, 0, s13                                     // 00000000917C: 820D0D80
	v_mfma_f32_16x16x32_fp8_fp8 v[252:255], a[76:77], a[176:177], 0// 000000009180: D3F300FC 1A03614C
	v_mfma_f32_16x16x32_fp8_fp8 v[252:255], a[78:79], a[178:179], v[252:255]// 000000009188: D3F300FC 1FF3654E
	s_waitcnt vmcnt(13)                                        // 000000009190: BF8C0F7D
	v_mfma_f32_16x16x32_fp8_fp8 v[192:195], a[80:81], a[132:133], v[192:195]// 000000009194: D3F300C0 1F030950
	v_mfma_f32_16x16x32_fp8_fp8 v[192:195], a[82:83], a[134:135], v[192:195]// 00000000919C: D3F300C0 1F030D52
	buffer_load_dwordx4 a[32:35], v51, s[12:15], 0 offen       // 0000000091A4: E05C1000 80832033
	v_mfma_f32_16x16x32_fp8_fp8 v[196:199], a[80:81], a[148:149], v[196:199]// 0000000091AC: D3F300C4 1F132950
	v_mfma_f32_16x16x32_fp8_fp8 v[196:199], a[82:83], a[150:151], v[196:199]// 0000000091B4: D3F300C4 1F132D52
	v_mfma_f32_16x16x32_fp8_fp8 v[200:203], a[80:81], a[164:165], v[200:203]// 0000000091BC: D3F300C8 1F234950
	v_mfma_f32_16x16x32_fp8_fp8 v[200:203], a[82:83], a[166:167], v[200:203]// 0000000091C4: D3F300C8 1F234D52
	buffer_load_dwordx4 a[36:39], v52, s[12:15], 0 offen       // 0000000091CC: E05C1000 80832434
	v_mfma_f32_16x16x32_fp8_fp8 v[204:207], a[80:81], a[180:181], v[204:207]// 0000000091D4: D3F300CC 1F336950
	v_mfma_f32_16x16x32_fp8_fp8 v[204:207], a[82:83], a[182:183], v[204:207]// 0000000091DC: D3F300CC 1F336D52
	v_mfma_f32_16x16x32_fp8_fp8 v[208:211], a[84:85], a[132:133], v[208:211]// 0000000091E4: D3F300D0 1F430954
	v_mfma_f32_16x16x32_fp8_fp8 v[208:211], a[86:87], a[134:135], v[208:211]// 0000000091EC: D3F300D0 1F430D56
	buffer_load_dwordx4 a[40:43], v53, s[12:15], 0 offen       // 0000000091F4: E05C1000 80832835
	v_mfma_f32_16x16x32_fp8_fp8 v[212:215], a[84:85], a[148:149], v[212:215]// 0000000091FC: D3F300D4 1F532954
	v_mfma_f32_16x16x32_fp8_fp8 v[212:215], a[86:87], a[150:151], v[212:215]// 000000009204: D3F300D4 1F532D56
	v_mfma_f32_16x16x32_fp8_fp8 v[216:219], a[84:85], a[164:165], v[216:219]// 00000000920C: D3F300D8 1F634954
	v_mfma_f32_16x16x32_fp8_fp8 v[216:219], a[86:87], a[166:167], v[216:219]// 000000009214: D3F300D8 1F634D56
	buffer_load_dwordx4 a[44:47], v54, s[12:15], 0 offen       // 00000000921C: E05C1000 80832C36
	s_add_u32 s12, s74, s12                                    // 000000009224: 800C0C4A
	s_addc_u32 s13, 0, s13                                     // 000000009228: 820D0D80
	v_mfma_f32_16x16x32_fp8_fp8 v[220:223], a[84:85], a[180:181], v[220:223]// 00000000922C: D3F300DC 1F736954
	v_mfma_f32_16x16x32_fp8_fp8 v[220:223], a[86:87], a[182:183], v[220:223]// 000000009234: D3F300DC 1F736D56
	s_waitcnt vmcnt(13)                                        // 00000000923C: BF8C0F7D
	v_mfma_f32_16x16x32_fp8_fp8 v[224:227], a[88:89], a[132:133], v[224:227]// 000000009240: D3F300E0 1F830958
	v_mfma_f32_16x16x32_fp8_fp8 v[224:227], a[90:91], a[134:135], v[224:227]// 000000009248: D3F300E0 1F830D5A
	buffer_load_dwordx4 a[48:51], v51, s[12:15], 0 offen       // 000000009250: E05C1000 80833033
	v_mfma_f32_16x16x32_fp8_fp8 v[228:231], a[88:89], a[148:149], v[228:231]// 000000009258: D3F300E4 1F932958
	v_mfma_f32_16x16x32_fp8_fp8 v[228:231], a[90:91], a[150:151], v[228:231]// 000000009260: D3F300E4 1F932D5A
	v_mfma_f32_16x16x32_fp8_fp8 v[232:235], a[88:89], a[164:165], v[232:235]// 000000009268: D3F300E8 1FA34958
	v_mfma_f32_16x16x32_fp8_fp8 v[232:235], a[90:91], a[166:167], v[232:235]// 000000009270: D3F300E8 1FA34D5A
	buffer_load_dwordx4 a[52:55], v52, s[12:15], 0 offen       // 000000009278: E05C1000 80833434
	v_mfma_f32_16x16x32_fp8_fp8 v[236:239], a[88:89], a[180:181], v[236:239]// 000000009280: D3F300EC 1FB36958
	v_mfma_f32_16x16x32_fp8_fp8 v[236:239], a[90:91], a[182:183], v[236:239]// 000000009288: D3F300EC 1FB36D5A
	v_mfma_f32_16x16x32_fp8_fp8 v[240:243], a[92:93], a[132:133], v[240:243]// 000000009290: D3F300F0 1FC3095C
	v_mfma_f32_16x16x32_fp8_fp8 v[240:243], a[94:95], a[134:135], v[240:243]// 000000009298: D3F300F0 1FC30D5E
	buffer_load_dwordx4 a[56:59], v53, s[12:15], 0 offen       // 0000000092A0: E05C1000 80833835
	v_mfma_f32_16x16x32_fp8_fp8 v[244:247], a[92:93], a[148:149], v[244:247]// 0000000092A8: D3F300F4 1FD3295C
	v_mfma_f32_16x16x32_fp8_fp8 v[244:247], a[94:95], a[150:151], v[244:247]// 0000000092B0: D3F300F4 1FD32D5E
	v_mfma_f32_16x16x32_fp8_fp8 v[248:251], a[92:93], a[164:165], v[248:251]// 0000000092B8: D3F300F8 1FE3495C
	v_mfma_f32_16x16x32_fp8_fp8 v[248:251], a[94:95], a[166:167], v[248:251]// 0000000092C0: D3F300F8 1FE34D5E
	buffer_load_dwordx4 a[60:63], v54, s[12:15], 0 offen       // 0000000092C8: E05C1000 80833C36
	v_mfma_f32_16x16x32_fp8_fp8 v[252:255], a[92:93], a[180:181], v[252:255]// 0000000092D0: D3F300FC 1FF3695C
	v_mfma_f32_16x16x32_fp8_fp8 v[252:255], a[94:95], a[182:183], v[252:255]// 0000000092D8: D3F300FC 1FF36D5E
	v_mul_f32_dpp v60, v38, v21 row_newbcast:0 row_mask:0xf bank_mask:0xf// 0000000092E0: 0A782AFA FF015026
	v_mov_b32_e32 v61, v60                                     // 0000000092E8: 7E7A033C
	v_pk_mul_f32 v[192:193], v[60:61], v[192:193]              // 0000000092EC: D3B140C0 1803813C
	v_pk_mul_f32 v[194:195], v[60:61], v[194:195]              // 0000000092F4: D3B140C2 1803853C
	v_pk_mul_f32 v[208:209], v[60:61], v[208:209]              // 0000000092FC: D3B140D0 1803A13C
	v_pk_mul_f32 v[210:211], v[60:61], v[210:211]              // 000000009304: D3B140D2 1803A53C
	v_mul_f32_dpp v60, v38, v21 row_newbcast:1 row_mask:0xf bank_mask:0xf// 00000000930C: 0A782AFA FF015126
	v_mov_b32_e32 v61, v60                                     // 000000009314: 7E7A033C
	v_pk_mul_f32 v[224:225], v[60:61], v[224:225]              // 000000009318: D3B140E0 1803C13C
	v_pk_mul_f32 v[226:227], v[60:61], v[226:227]              // 000000009320: D3B140E2 1803C53C
	v_pk_mul_f32 v[240:241], v[60:61], v[240:241]              // 000000009328: D3B140F0 1803E13C
	v_pk_mul_f32 v[242:243], v[60:61], v[242:243]              // 000000009330: D3B140F2 1803E53C
	v_mul_f32_dpp v60, v38, v22 row_newbcast:0 row_mask:0xf bank_mask:0xf// 000000009338: 0A782CFA FF015026
	v_mov_b32_e32 v61, v60                                     // 000000009340: 7E7A033C
	v_pk_mul_f32 v[196:197], v[60:61], v[196:197]              // 000000009344: D3B140C4 1803893C
	v_pk_mul_f32 v[198:199], v[60:61], v[198:199]              // 00000000934C: D3B140C6 18038D3C
	v_pk_mul_f32 v[212:213], v[60:61], v[212:213]              // 000000009354: D3B140D4 1803A93C
	v_pk_mul_f32 v[214:215], v[60:61], v[214:215]              // 00000000935C: D3B140D6 1803AD3C
	v_mul_f32_dpp v60, v38, v22 row_newbcast:1 row_mask:0xf bank_mask:0xf// 000000009364: 0A782CFA FF015126
	v_mov_b32_e32 v61, v60                                     // 00000000936C: 7E7A033C
	v_pk_mul_f32 v[228:229], v[60:61], v[228:229]              // 000000009370: D3B140E4 1803C93C
	v_pk_mul_f32 v[230:231], v[60:61], v[230:231]              // 000000009378: D3B140E6 1803CD3C
	v_pk_mul_f32 v[244:245], v[60:61], v[244:245]              // 000000009380: D3B140F4 1803E93C
	v_pk_mul_f32 v[246:247], v[60:61], v[246:247]              // 000000009388: D3B140F6 1803ED3C
	v_mul_f32_dpp v60, v38, v23 row_newbcast:0 row_mask:0xf bank_mask:0xf// 000000009390: 0A782EFA FF015026
	v_mov_b32_e32 v61, v60                                     // 000000009398: 7E7A033C
	v_pk_mul_f32 v[200:201], v[60:61], v[200:201]              // 00000000939C: D3B140C8 1803913C
	v_pk_mul_f32 v[202:203], v[60:61], v[202:203]              // 0000000093A4: D3B140CA 1803953C
	v_pk_mul_f32 v[216:217], v[60:61], v[216:217]              // 0000000093AC: D3B140D8 1803B13C
	v_pk_mul_f32 v[218:219], v[60:61], v[218:219]              // 0000000093B4: D3B140DA 1803B53C
	v_mul_f32_dpp v60, v38, v23 row_newbcast:1 row_mask:0xf bank_mask:0xf// 0000000093BC: 0A782EFA FF015126
	v_mov_b32_e32 v61, v60                                     // 0000000093C4: 7E7A033C
	v_pk_mul_f32 v[232:233], v[60:61], v[232:233]              // 0000000093C8: D3B140E8 1803D13C
	v_pk_mul_f32 v[234:235], v[60:61], v[234:235]              // 0000000093D0: D3B140EA 1803D53C
	v_pk_mul_f32 v[248:249], v[60:61], v[248:249]              // 0000000093D8: D3B140F8 1803F13C
	v_pk_mul_f32 v[250:251], v[60:61], v[250:251]              // 0000000093E0: D3B140FA 1803F53C
	v_mul_f32_dpp v60, v38, v24 row_newbcast:0 row_mask:0xf bank_mask:0xf// 0000000093E8: 0A7830FA FF015026
	v_mov_b32_e32 v61, v60                                     // 0000000093F0: 7E7A033C
	v_pk_mul_f32 v[204:205], v[60:61], v[204:205]              // 0000000093F4: D3B140CC 1803993C
	v_pk_mul_f32 v[206:207], v[60:61], v[206:207]              // 0000000093FC: D3B140CE 18039D3C
	v_pk_mul_f32 v[220:221], v[60:61], v[220:221]              // 000000009404: D3B140DC 1803B93C
	v_pk_mul_f32 v[222:223], v[60:61], v[222:223]              // 00000000940C: D3B140DE 1803BD3C
	v_mul_f32_dpp v60, v38, v24 row_newbcast:1 row_mask:0xf bank_mask:0xf// 000000009414: 0A7830FA FF015126
	v_mov_b32_e32 v61, v60                                     // 00000000941C: 7E7A033C
	v_pk_mul_f32 v[236:237], v[60:61], v[236:237]              // 000000009420: D3B140EC 1803D93C
	v_pk_mul_f32 v[238:239], v[60:61], v[238:239]              // 000000009428: D3B140EE 1803DD3C
	v_pk_mul_f32 v[252:253], v[60:61], v[252:253]              // 000000009430: D3B140FC 1803F93C
	v_pk_mul_f32 v[254:255], v[60:61], v[254:255]              // 000000009438: D3B140FE 1803FD3C
	s_waitcnt vmcnt(13)                                        // 000000009440: BF8C0F7D
	v_mfma_f32_16x16x32_fp8_fp8 v[128:131], a[96:97], a[136:137], 0// 000000009444: D3F30080 1A031160
	v_mfma_f32_16x16x32_fp8_fp8 v[128:131], a[98:99], a[138:139], v[128:131]// 00000000944C: D3F30080 1E031562
	v_mfma_f32_16x16x32_fp8_fp8 v[132:135], a[96:97], a[152:153], 0// 000000009454: D3F30084 1A033160
	v_mfma_f32_16x16x32_fp8_fp8 v[132:135], a[98:99], a[154:155], v[132:135]// 00000000945C: D3F30084 1E133562
	v_mfma_f32_16x16x32_fp8_fp8 v[136:139], a[96:97], a[168:169], 0// 000000009464: D3F30088 1A035160
	v_mfma_f32_16x16x32_fp8_fp8 v[136:139], a[98:99], a[170:171], v[136:139]// 00000000946C: D3F30088 1E235562
	v_mfma_f32_16x16x32_fp8_fp8 v[140:143], a[96:97], a[184:185], 0// 000000009474: D3F3008C 1A037160
	v_mfma_f32_16x16x32_fp8_fp8 v[140:143], a[98:99], a[186:187], v[140:143]// 00000000947C: D3F3008C 1E337562
	v_mfma_f32_16x16x32_fp8_fp8 v[144:147], a[100:101], a[136:137], 0// 000000009484: D3F30090 1A031164
	v_mfma_f32_16x16x32_fp8_fp8 v[144:147], a[102:103], a[138:139], v[144:147]// 00000000948C: D3F30090 1E431566
	v_mfma_f32_16x16x32_fp8_fp8 v[148:151], a[100:101], a[152:153], 0// 000000009494: D3F30094 1A033164
	v_mfma_f32_16x16x32_fp8_fp8 v[148:151], a[102:103], a[154:155], v[148:151]// 00000000949C: D3F30094 1E533566
	v_mfma_f32_16x16x32_fp8_fp8 v[152:155], a[100:101], a[168:169], 0// 0000000094A4: D3F30098 1A035164
	v_mfma_f32_16x16x32_fp8_fp8 v[152:155], a[102:103], a[170:171], v[152:155]// 0000000094AC: D3F30098 1E635566
	v_mfma_f32_16x16x32_fp8_fp8 v[156:159], a[100:101], a[184:185], 0// 0000000094B4: D3F3009C 1A037164
	v_mfma_f32_16x16x32_fp8_fp8 v[156:159], a[102:103], a[186:187], v[156:159]// 0000000094BC: D3F3009C 1E737566
	s_waitcnt vmcnt(13)                                        // 0000000094C4: BF8C0F7D
	v_mfma_f32_16x16x32_fp8_fp8 v[160:163], a[104:105], a[136:137], 0// 0000000094C8: D3F300A0 1A031168
	v_mfma_f32_16x16x32_fp8_fp8 v[160:163], a[106:107], a[138:139], v[160:163]// 0000000094D0: D3F300A0 1E83156A
	v_mfma_f32_16x16x32_fp8_fp8 v[164:167], a[104:105], a[152:153], 0// 0000000094D8: D3F300A4 1A033168
	v_mfma_f32_16x16x32_fp8_fp8 v[164:167], a[106:107], a[154:155], v[164:167]// 0000000094E0: D3F300A4 1E93356A
	v_mfma_f32_16x16x32_fp8_fp8 v[168:171], a[104:105], a[168:169], 0// 0000000094E8: D3F300A8 1A035168
	v_mfma_f32_16x16x32_fp8_fp8 v[168:171], a[106:107], a[170:171], v[168:171]// 0000000094F0: D3F300A8 1EA3556A
	v_mfma_f32_16x16x32_fp8_fp8 v[172:175], a[104:105], a[184:185], 0// 0000000094F8: D3F300AC 1A037168
	v_mfma_f32_16x16x32_fp8_fp8 v[172:175], a[106:107], a[186:187], v[172:175]// 000000009500: D3F300AC 1EB3756A
	v_mfma_f32_16x16x32_fp8_fp8 v[176:179], a[108:109], a[136:137], 0// 000000009508: D3F300B0 1A03116C
	v_mfma_f32_16x16x32_fp8_fp8 v[176:179], a[110:111], a[138:139], v[176:179]// 000000009510: D3F300B0 1EC3156E
	v_mfma_f32_16x16x32_fp8_fp8 v[180:183], a[108:109], a[152:153], 0// 000000009518: D3F300B4 1A03316C
	v_mfma_f32_16x16x32_fp8_fp8 v[180:183], a[110:111], a[154:155], v[180:183]// 000000009520: D3F300B4 1ED3356E
	v_mfma_f32_16x16x32_fp8_fp8 v[184:187], a[108:109], a[168:169], 0// 000000009528: D3F300B8 1A03516C
	v_mfma_f32_16x16x32_fp8_fp8 v[184:187], a[110:111], a[170:171], v[184:187]// 000000009530: D3F300B8 1EE3556E
	v_mfma_f32_16x16x32_fp8_fp8 v[188:191], a[108:109], a[184:185], 0// 000000009538: D3F300BC 1A03716C
	v_mfma_f32_16x16x32_fp8_fp8 v[188:191], a[110:111], a[186:187], v[188:191]// 000000009540: D3F300BC 1EF3756E
	s_waitcnt vmcnt(13)                                        // 000000009548: BF8C0F7D
	v_mfma_f32_16x16x32_fp8_fp8 v[128:131], a[112:113], a[140:141], v[128:131]// 00000000954C: D3F30080 1E031970
	v_mfma_f32_16x16x32_fp8_fp8 v[128:131], a[114:115], a[142:143], v[128:131]// 000000009554: D3F30080 1E031D72
	v_mfma_f32_16x16x32_fp8_fp8 v[132:135], a[112:113], a[156:157], v[132:135]// 00000000955C: D3F30084 1E133970
	v_mfma_f32_16x16x32_fp8_fp8 v[132:135], a[114:115], a[158:159], v[132:135]// 000000009564: D3F30084 1E133D72
	v_mfma_f32_16x16x32_fp8_fp8 v[136:139], a[112:113], a[172:173], v[136:139]// 00000000956C: D3F30088 1E235970
	v_mfma_f32_16x16x32_fp8_fp8 v[136:139], a[114:115], a[174:175], v[136:139]// 000000009574: D3F30088 1E235D72
	v_mfma_f32_16x16x32_fp8_fp8 v[140:143], a[112:113], a[188:189], v[140:143]// 00000000957C: D3F3008C 1E337970
	v_mfma_f32_16x16x32_fp8_fp8 v[140:143], a[114:115], a[190:191], v[140:143]// 000000009584: D3F3008C 1E337D72
	v_mfma_f32_16x16x32_fp8_fp8 v[144:147], a[116:117], a[140:141], v[144:147]// 00000000958C: D3F30090 1E431974
	v_mfma_f32_16x16x32_fp8_fp8 v[144:147], a[118:119], a[142:143], v[144:147]// 000000009594: D3F30090 1E431D76
	v_mfma_f32_16x16x32_fp8_fp8 v[148:151], a[116:117], a[156:157], v[148:151]// 00000000959C: D3F30094 1E533974
	v_mfma_f32_16x16x32_fp8_fp8 v[148:151], a[118:119], a[158:159], v[148:151]// 0000000095A4: D3F30094 1E533D76
	v_mfma_f32_16x16x32_fp8_fp8 v[152:155], a[116:117], a[172:173], v[152:155]// 0000000095AC: D3F30098 1E635974
	v_mfma_f32_16x16x32_fp8_fp8 v[152:155], a[118:119], a[174:175], v[152:155]// 0000000095B4: D3F30098 1E635D76
	v_mfma_f32_16x16x32_fp8_fp8 v[156:159], a[116:117], a[188:189], v[156:159]// 0000000095BC: D3F3009C 1E737974
	v_mfma_f32_16x16x32_fp8_fp8 v[156:159], a[118:119], a[190:191], v[156:159]// 0000000095C4: D3F3009C 1E737D76
	s_waitcnt vmcnt(13)                                        // 0000000095CC: BF8C0F7D
	v_mfma_f32_16x16x32_fp8_fp8 v[160:163], a[120:121], a[140:141], v[160:163]// 0000000095D0: D3F300A0 1E831978
	v_mfma_f32_16x16x32_fp8_fp8 v[160:163], a[122:123], a[142:143], v[160:163]// 0000000095D8: D3F300A0 1E831D7A
	v_mfma_f32_16x16x32_fp8_fp8 v[164:167], a[120:121], a[156:157], v[164:167]// 0000000095E0: D3F300A4 1E933978
	v_mfma_f32_16x16x32_fp8_fp8 v[164:167], a[122:123], a[158:159], v[164:167]// 0000000095E8: D3F300A4 1E933D7A
	v_mfma_f32_16x16x32_fp8_fp8 v[168:171], a[120:121], a[172:173], v[168:171]// 0000000095F0: D3F300A8 1EA35978
	v_mfma_f32_16x16x32_fp8_fp8 v[168:171], a[122:123], a[174:175], v[168:171]// 0000000095F8: D3F300A8 1EA35D7A
	v_mfma_f32_16x16x32_fp8_fp8 v[172:175], a[120:121], a[188:189], v[172:175]// 000000009600: D3F300AC 1EB37978
	v_mfma_f32_16x16x32_fp8_fp8 v[172:175], a[122:123], a[190:191], v[172:175]// 000000009608: D3F300AC 1EB37D7A
	v_mfma_f32_16x16x32_fp8_fp8 v[176:179], a[124:125], a[140:141], v[176:179]// 000000009610: D3F300B0 1EC3197C
	v_mfma_f32_16x16x32_fp8_fp8 v[176:179], a[126:127], a[142:143], v[176:179]// 000000009618: D3F300B0 1EC31D7E
	v_mfma_f32_16x16x32_fp8_fp8 v[180:183], a[124:125], a[156:157], v[180:183]// 000000009620: D3F300B4 1ED3397C
	v_mfma_f32_16x16x32_fp8_fp8 v[180:183], a[126:127], a[158:159], v[180:183]// 000000009628: D3F300B4 1ED33D7E
	v_mfma_f32_16x16x32_fp8_fp8 v[184:187], a[124:125], a[172:173], v[184:187]// 000000009630: D3F300B8 1EE3597C
	v_mfma_f32_16x16x32_fp8_fp8 v[184:187], a[126:127], a[174:175], v[184:187]// 000000009638: D3F300B8 1EE35D7E
	v_mfma_f32_16x16x32_fp8_fp8 v[188:191], a[124:125], a[188:189], v[188:191]// 000000009640: D3F300BC 1EF3797C
	v_mfma_f32_16x16x32_fp8_fp8 v[188:191], a[126:127], a[190:191], v[188:191]// 000000009648: D3F300BC 1EF37D7E
	v_mul_f32_dpp v60, v38, v25 row_newbcast:2 row_mask:0xf bank_mask:0xf// 000000009650: 0A7832FA FF015226
	v_mov_b32_e32 v61, v60                                     // 000000009658: 7E7A033C
	v_pk_fma_f32 v[192:193], v[128:129], v[60:61], v[192:193]  // 00000000965C: D3B040C0 1F027980
	v_pk_fma_f32 v[194:195], v[130:131], v[60:61], v[194:195]  // 000000009664: D3B040C2 1F0A7982
	v_pk_fma_f32 v[208:209], v[144:145], v[60:61], v[208:209]  // 00000000966C: D3B040D0 1F427990
	v_pk_fma_f32 v[210:211], v[146:147], v[60:61], v[210:211]  // 000000009674: D3B040D2 1F4A7992
	v_mul_f32_dpp v60, v38, v25 row_newbcast:3 row_mask:0xf bank_mask:0xf// 00000000967C: 0A7832FA FF015326
	v_mov_b32_e32 v61, v60                                     // 000000009684: 7E7A033C
	v_pk_fma_f32 v[224:225], v[160:161], v[60:61], v[224:225]  // 000000009688: D3B040E0 1F8279A0
	v_pk_fma_f32 v[226:227], v[162:163], v[60:61], v[226:227]  // 000000009690: D3B040E2 1F8A79A2
	v_pk_fma_f32 v[240:241], v[176:177], v[60:61], v[240:241]  // 000000009698: D3B040F0 1FC279B0
	v_pk_fma_f32 v[242:243], v[178:179], v[60:61], v[242:243]  // 0000000096A0: D3B040F2 1FCA79B2
	v_mul_f32_dpp v60, v38, v26 row_newbcast:2 row_mask:0xf bank_mask:0xf// 0000000096A8: 0A7834FA FF015226
	v_mov_b32_e32 v61, v60                                     // 0000000096B0: 7E7A033C
	v_pk_fma_f32 v[196:197], v[132:133], v[60:61], v[196:197]  // 0000000096B4: D3B040C4 1F127984
	v_pk_fma_f32 v[198:199], v[134:135], v[60:61], v[198:199]  // 0000000096BC: D3B040C6 1F1A7986
	v_pk_fma_f32 v[212:213], v[148:149], v[60:61], v[212:213]  // 0000000096C4: D3B040D4 1F527994
	v_pk_fma_f32 v[214:215], v[150:151], v[60:61], v[214:215]  // 0000000096CC: D3B040D6 1F5A7996
	v_mul_f32_dpp v60, v38, v26 row_newbcast:3 row_mask:0xf bank_mask:0xf// 0000000096D4: 0A7834FA FF015326
	v_mov_b32_e32 v61, v60                                     // 0000000096DC: 7E7A033C
	v_pk_fma_f32 v[228:229], v[164:165], v[60:61], v[228:229]  // 0000000096E0: D3B040E4 1F9279A4
	v_pk_fma_f32 v[230:231], v[166:167], v[60:61], v[230:231]  // 0000000096E8: D3B040E6 1F9A79A6
	v_pk_fma_f32 v[244:245], v[180:181], v[60:61], v[244:245]  // 0000000096F0: D3B040F4 1FD279B4
	v_pk_fma_f32 v[246:247], v[182:183], v[60:61], v[246:247]  // 0000000096F8: D3B040F6 1FDA79B6
	v_mul_f32_dpp v60, v38, v27 row_newbcast:2 row_mask:0xf bank_mask:0xf// 000000009700: 0A7836FA FF015226
	v_mov_b32_e32 v61, v60                                     // 000000009708: 7E7A033C
	v_pk_fma_f32 v[200:201], v[136:137], v[60:61], v[200:201]  // 00000000970C: D3B040C8 1F227988
	v_pk_fma_f32 v[202:203], v[138:139], v[60:61], v[202:203]  // 000000009714: D3B040CA 1F2A798A
	v_pk_fma_f32 v[216:217], v[152:153], v[60:61], v[216:217]  // 00000000971C: D3B040D8 1F627998
	v_pk_fma_f32 v[218:219], v[154:155], v[60:61], v[218:219]  // 000000009724: D3B040DA 1F6A799A
	v_mul_f32_dpp v60, v38, v27 row_newbcast:3 row_mask:0xf bank_mask:0xf// 00000000972C: 0A7836FA FF015326
	v_mov_b32_e32 v61, v60                                     // 000000009734: 7E7A033C
	v_pk_fma_f32 v[232:233], v[168:169], v[60:61], v[232:233]  // 000000009738: D3B040E8 1FA279A8
	v_pk_fma_f32 v[234:235], v[170:171], v[60:61], v[234:235]  // 000000009740: D3B040EA 1FAA79AA
	v_pk_fma_f32 v[248:249], v[184:185], v[60:61], v[248:249]  // 000000009748: D3B040F8 1FE279B8
	v_pk_fma_f32 v[250:251], v[186:187], v[60:61], v[250:251]  // 000000009750: D3B040FA 1FEA79BA
	v_mul_f32_dpp v60, v38, v28 row_newbcast:2 row_mask:0xf bank_mask:0xf// 000000009758: 0A7838FA FF015226
	v_mov_b32_e32 v61, v60                                     // 000000009760: 7E7A033C
	v_pk_fma_f32 v[204:205], v[140:141], v[60:61], v[204:205]  // 000000009764: D3B040CC 1F32798C
	v_pk_fma_f32 v[206:207], v[142:143], v[60:61], v[206:207]  // 00000000976C: D3B040CE 1F3A798E
	v_pk_fma_f32 v[220:221], v[156:157], v[60:61], v[220:221]  // 000000009774: D3B040DC 1F72799C
	v_pk_fma_f32 v[222:223], v[158:159], v[60:61], v[222:223]  // 00000000977C: D3B040DE 1F7A799E
	v_mul_f32_dpp v60, v38, v28 row_newbcast:3 row_mask:0xf bank_mask:0xf// 000000009784: 0A7838FA FF015326
	v_mov_b32_e32 v61, v60                                     // 00000000978C: 7E7A033C
	v_pk_fma_f32 v[236:237], v[172:173], v[60:61], v[236:237]  // 000000009790: D3B040EC 1FB279AC
	v_pk_fma_f32 v[238:239], v[174:175], v[60:61], v[238:239]  // 000000009798: D3B040EE 1FBA79AE
	v_pk_fma_f32 v[252:253], v[188:189], v[60:61], v[252:253]  // 0000000097A0: D3B040FC 1FF279BC
	v_pk_fma_f32 v[254:255], v[190:191], v[60:61], v[254:255]  // 0000000097A8: D3B040FE 1FFA79BE
	s_add_u32 s56, 0x200, s76                                  // 0000000097B0: 80384CFF 00000200
	s_cmp_lt_u32 s56, s77                                      // 0000000097B8: BF0A4D38
	s_cselect_b32 s52, s52, 0                                  // 0000000097BC: 85348034
	s_cselect_b32 s74, s74, 0                                  // 0000000097C0: 854A804A
	s_cselect_b32 s75, s75, 0                                  // 0000000097C4: 854B804B
	s_add_u32 s12, s52, s12                                    // 0000000097C8: 800C0C34
	s_addc_u32 s13, 0, s13                                     // 0000000097CC: 820D0D80
	s_add_u32 s16, s75, s16                                    // 0000000097D0: 8010104B
	s_addc_u32 s17, 0, s17                                     // 0000000097D4: 82111180
	v_mov_b32_e32 v60, v39                                     // 0000000097D8: 7E780327
	v_mov_b32_e32 v61, v39                                     // 0000000097DC: 7E7A0327
	v_pk_mul_f32 v[192:193], v[60:61], v[192:193]              // 0000000097E0: D3B140C0 1803813C
	v_pk_mul_f32 v[194:195], v[60:61], v[194:195]              // 0000000097E8: D3B140C2 1803853C
	v_pk_mul_f32 v[208:209], v[60:61], v[208:209]              // 0000000097F0: D3B140D0 1803A13C
	v_pk_mul_f32 v[210:211], v[60:61], v[210:211]              // 0000000097F8: D3B140D2 1803A53C
	v_pk_mul_f32 v[224:225], v[60:61], v[224:225]              // 000000009800: D3B140E0 1803C13C
	v_pk_mul_f32 v[226:227], v[60:61], v[226:227]              // 000000009808: D3B140E2 1803C53C
	v_pk_mul_f32 v[240:241], v[60:61], v[240:241]              // 000000009810: D3B140F0 1803E13C
	v_pk_mul_f32 v[242:243], v[60:61], v[242:243]              // 000000009818: D3B140F2 1803E53C
	v_mov_b32_e32 v60, v40                                     // 000000009820: 7E780328
	v_mov_b32_e32 v61, v40                                     // 000000009824: 7E7A0328
	v_pk_mul_f32 v[196:197], v[60:61], v[196:197]              // 000000009828: D3B140C4 1803893C
	v_pk_mul_f32 v[198:199], v[60:61], v[198:199]              // 000000009830: D3B140C6 18038D3C
	v_pk_mul_f32 v[212:213], v[60:61], v[212:213]              // 000000009838: D3B140D4 1803A93C
	v_pk_mul_f32 v[214:215], v[60:61], v[214:215]              // 000000009840: D3B140D6 1803AD3C
	v_pk_mul_f32 v[228:229], v[60:61], v[228:229]              // 000000009848: D3B140E4 1803C93C
	v_pk_mul_f32 v[230:231], v[60:61], v[230:231]              // 000000009850: D3B140E6 1803CD3C
	v_pk_mul_f32 v[244:245], v[60:61], v[244:245]              // 000000009858: D3B140F4 1803E93C
	v_pk_mul_f32 v[246:247], v[60:61], v[246:247]              // 000000009860: D3B140F6 1803ED3C
	v_mov_b32_e32 v60, v41                                     // 000000009868: 7E780329
	v_mov_b32_e32 v61, v41                                     // 00000000986C: 7E7A0329
	v_pk_mul_f32 v[200:201], v[60:61], v[200:201]              // 000000009870: D3B140C8 1803913C
	v_pk_mul_f32 v[202:203], v[60:61], v[202:203]              // 000000009878: D3B140CA 1803953C
	v_pk_mul_f32 v[216:217], v[60:61], v[216:217]              // 000000009880: D3B140D8 1803B13C
	v_pk_mul_f32 v[218:219], v[60:61], v[218:219]              // 000000009888: D3B140DA 1803B53C
	v_pk_mul_f32 v[232:233], v[60:61], v[232:233]              // 000000009890: D3B140E8 1803D13C
	v_pk_mul_f32 v[234:235], v[60:61], v[234:235]              // 000000009898: D3B140EA 1803D53C
	v_pk_mul_f32 v[248:249], v[60:61], v[248:249]              // 0000000098A0: D3B140F8 1803F13C
	v_pk_mul_f32 v[250:251], v[60:61], v[250:251]              // 0000000098A8: D3B140FA 1803F53C
	v_mov_b32_e32 v60, v42                                     // 0000000098B0: 7E78032A
	v_mov_b32_e32 v61, v42                                     // 0000000098B4: 7E7A032A
	v_pk_mul_f32 v[204:205], v[60:61], v[204:205]              // 0000000098B8: D3B140CC 1803993C
	v_pk_mul_f32 v[206:207], v[60:61], v[206:207]              // 0000000098C0: D3B140CE 18039D3C
	v_pk_mul_f32 v[220:221], v[60:61], v[220:221]              // 0000000098C8: D3B140DC 1803B93C
	v_pk_mul_f32 v[222:223], v[60:61], v[222:223]              // 0000000098D0: D3B140DE 1803BD3C
	v_pk_mul_f32 v[236:237], v[60:61], v[236:237]              // 0000000098D8: D3B140EC 1803D93C
	v_pk_mul_f32 v[238:239], v[60:61], v[238:239]              // 0000000098E0: D3B140EE 1803DD3C
	v_pk_mul_f32 v[252:253], v[60:61], v[252:253]              // 0000000098E8: D3B140FC 1803F93C
	v_pk_mul_f32 v[254:255], v[60:61], v[254:255]              // 0000000098F0: D3B140FE 1803FD3C
	s_mov_b32 s56, 0x7060302                                   // 0000000098F8: BEB800FF 07060302
	v_cmp_u_f32_e64 s[48:49], v192, v192                       // 000000009900: D0480030 000381C0
	v_add3_u32 v55, v192, v58, 1                               // 000000009908: D1FF0037 020675C0
	v_cndmask_b32_e64 v60, v55, v57, s[48:49]                  // 000000009910: D100003C 00C27337
	v_cmp_u_f32_e64 s[48:49], v193, v193                       // 000000009918: D0480030 000383C1
	v_add3_u32 v55, v193, v58, 1                               // 000000009920: D1FF0037 020675C1
	v_cndmask_b32_e64 v61, v55, v57, s[48:49]                  // 000000009928: D100003D 00C27337
	v_perm_b32 v192, v61, v60, s56                             // 000000009930: D1ED00C0 00E2793D
	s_mov_b32 s56, 0x7060302                                   // 000000009938: BEB800FF 07060302
	v_cmp_u_f32_e64 s[48:49], v194, v194                       // 000000009940: D0480030 000385C2
	v_add3_u32 v55, v194, v58, 1                               // 000000009948: D1FF0037 020675C2
	v_cndmask_b32_e64 v60, v55, v57, s[48:49]                  // 000000009950: D100003C 00C27337
	v_cmp_u_f32_e64 s[48:49], v195, v195                       // 000000009958: D0480030 000387C3
	v_add3_u32 v55, v195, v58, 1                               // 000000009960: D1FF0037 020675C3
	v_cndmask_b32_e64 v61, v55, v57, s[48:49]                  // 000000009968: D100003D 00C27337
	v_perm_b32 v193, v61, v60, s56                             // 000000009970: D1ED00C1 00E2793D
	s_mov_b32 s56, 0x7060302                                   // 000000009978: BEB800FF 07060302
	v_cmp_u_f32_e64 s[48:49], v196, v196                       // 000000009980: D0480030 000389C4
	v_add3_u32 v55, v196, v58, 1                               // 000000009988: D1FF0037 020675C4
	v_cndmask_b32_e64 v60, v55, v57, s[48:49]                  // 000000009990: D100003C 00C27337
	v_cmp_u_f32_e64 s[48:49], v197, v197                       // 000000009998: D0480030 00038BC5
	v_add3_u32 v55, v197, v58, 1                               // 0000000099A0: D1FF0037 020675C5
	v_cndmask_b32_e64 v61, v55, v57, s[48:49]                  // 0000000099A8: D100003D 00C27337
	v_perm_b32 v194, v61, v60, s56                             // 0000000099B0: D1ED00C2 00E2793D
	s_mov_b32 s56, 0x7060302                                   // 0000000099B8: BEB800FF 07060302
	v_cmp_u_f32_e64 s[48:49], v198, v198                       // 0000000099C0: D0480030 00038DC6
	v_add3_u32 v55, v198, v58, 1                               // 0000000099C8: D1FF0037 020675C6
	v_cndmask_b32_e64 v60, v55, v57, s[48:49]                  // 0000000099D0: D100003C 00C27337
	v_cmp_u_f32_e64 s[48:49], v199, v199                       // 0000000099D8: D0480030 00038FC7
	v_add3_u32 v55, v199, v58, 1                               // 0000000099E0: D1FF0037 020675C7
	v_cndmask_b32_e64 v61, v55, v57, s[48:49]                  // 0000000099E8: D100003D 00C27337
	v_perm_b32 v195, v61, v60, s56                             // 0000000099F0: D1ED00C3 00E2793D
	s_mov_b32 s56, 0x7060302                                   // 0000000099F8: BEB800FF 07060302
	v_cmp_u_f32_e64 s[48:49], v200, v200                       // 000000009A00: D0480030 000391C8
	v_add3_u32 v55, v200, v58, 1                               // 000000009A08: D1FF0037 020675C8
	v_cndmask_b32_e64 v60, v55, v57, s[48:49]                  // 000000009A10: D100003C 00C27337
	v_cmp_u_f32_e64 s[48:49], v201, v201                       // 000000009A18: D0480030 000393C9
	v_add3_u32 v55, v201, v58, 1                               // 000000009A20: D1FF0037 020675C9
	v_cndmask_b32_e64 v61, v55, v57, s[48:49]                  // 000000009A28: D100003D 00C27337
	v_perm_b32 v196, v61, v60, s56                             // 000000009A30: D1ED00C4 00E2793D
	s_mov_b32 s56, 0x7060302                                   // 000000009A38: BEB800FF 07060302
	v_cmp_u_f32_e64 s[48:49], v202, v202                       // 000000009A40: D0480030 000395CA
	v_add3_u32 v55, v202, v58, 1                               // 000000009A48: D1FF0037 020675CA
	v_cndmask_b32_e64 v60, v55, v57, s[48:49]                  // 000000009A50: D100003C 00C27337
	v_cmp_u_f32_e64 s[48:49], v203, v203                       // 000000009A58: D0480030 000397CB
	v_add3_u32 v55, v203, v58, 1                               // 000000009A60: D1FF0037 020675CB
	v_cndmask_b32_e64 v61, v55, v57, s[48:49]                  // 000000009A68: D100003D 00C27337
	v_perm_b32 v197, v61, v60, s56                             // 000000009A70: D1ED00C5 00E2793D
	s_mov_b32 s56, 0x7060302                                   // 000000009A78: BEB800FF 07060302
	v_cmp_u_f32_e64 s[48:49], v204, v204                       // 000000009A80: D0480030 000399CC
	v_add3_u32 v55, v204, v58, 1                               // 000000009A88: D1FF0037 020675CC
	v_cndmask_b32_e64 v60, v55, v57, s[48:49]                  // 000000009A90: D100003C 00C27337
	v_cmp_u_f32_e64 s[48:49], v205, v205                       // 000000009A98: D0480030 00039BCD
	v_add3_u32 v55, v205, v58, 1                               // 000000009AA0: D1FF0037 020675CD
	v_cndmask_b32_e64 v61, v55, v57, s[48:49]                  // 000000009AA8: D100003D 00C27337
	v_perm_b32 v198, v61, v60, s56                             // 000000009AB0: D1ED00C6 00E2793D
	s_mov_b32 s56, 0x7060302                                   // 000000009AB8: BEB800FF 07060302
	v_cmp_u_f32_e64 s[48:49], v206, v206                       // 000000009AC0: D0480030 00039DCE
	v_add3_u32 v55, v206, v58, 1                               // 000000009AC8: D1FF0037 020675CE
	v_cndmask_b32_e64 v60, v55, v57, s[48:49]                  // 000000009AD0: D100003C 00C27337
	v_cmp_u_f32_e64 s[48:49], v207, v207                       // 000000009AD8: D0480030 00039FCF
	v_add3_u32 v55, v207, v58, 1                               // 000000009AE0: D1FF0037 020675CF
	v_cndmask_b32_e64 v61, v55, v57, s[48:49]                  // 000000009AE8: D100003D 00C27337
	v_perm_b32 v199, v61, v60, s56                             // 000000009AF0: D1ED00C7 00E2793D
	s_mov_b32 s56, 0x7060302                                   // 000000009AF8: BEB800FF 07060302
	v_cmp_u_f32_e64 s[48:49], v208, v208                       // 000000009B00: D0480030 0003A1D0
	v_add3_u32 v55, v208, v58, 1                               // 000000009B08: D1FF0037 020675D0
	v_cndmask_b32_e64 v60, v55, v57, s[48:49]                  // 000000009B10: D100003C 00C27337
	v_cmp_u_f32_e64 s[48:49], v209, v209                       // 000000009B18: D0480030 0003A3D1
	v_add3_u32 v55, v209, v58, 1                               // 000000009B20: D1FF0037 020675D1
	v_cndmask_b32_e64 v61, v55, v57, s[48:49]                  // 000000009B28: D100003D 00C27337
	v_perm_b32 v200, v61, v60, s56                             // 000000009B30: D1ED00C8 00E2793D
	s_mov_b32 s56, 0x7060302                                   // 000000009B38: BEB800FF 07060302
	v_cmp_u_f32_e64 s[48:49], v210, v210                       // 000000009B40: D0480030 0003A5D2
	v_add3_u32 v55, v210, v58, 1                               // 000000009B48: D1FF0037 020675D2
	v_cndmask_b32_e64 v60, v55, v57, s[48:49]                  // 000000009B50: D100003C 00C27337
	v_cmp_u_f32_e64 s[48:49], v211, v211                       // 000000009B58: D0480030 0003A7D3
	v_add3_u32 v55, v211, v58, 1                               // 000000009B60: D1FF0037 020675D3
	v_cndmask_b32_e64 v61, v55, v57, s[48:49]                  // 000000009B68: D100003D 00C27337
	v_perm_b32 v201, v61, v60, s56                             // 000000009B70: D1ED00C9 00E2793D
	s_mov_b32 s56, 0x7060302                                   // 000000009B78: BEB800FF 07060302
	v_cmp_u_f32_e64 s[48:49], v212, v212                       // 000000009B80: D0480030 0003A9D4
	v_add3_u32 v55, v212, v58, 1                               // 000000009B88: D1FF0037 020675D4
	v_cndmask_b32_e64 v60, v55, v57, s[48:49]                  // 000000009B90: D100003C 00C27337
	v_cmp_u_f32_e64 s[48:49], v213, v213                       // 000000009B98: D0480030 0003ABD5
	v_add3_u32 v55, v213, v58, 1                               // 000000009BA0: D1FF0037 020675D5
	v_cndmask_b32_e64 v61, v55, v57, s[48:49]                  // 000000009BA8: D100003D 00C27337
	v_perm_b32 v202, v61, v60, s56                             // 000000009BB0: D1ED00CA 00E2793D
	s_mov_b32 s56, 0x7060302                                   // 000000009BB8: BEB800FF 07060302
	v_cmp_u_f32_e64 s[48:49], v214, v214                       // 000000009BC0: D0480030 0003ADD6
	v_add3_u32 v55, v214, v58, 1                               // 000000009BC8: D1FF0037 020675D6
	v_cndmask_b32_e64 v60, v55, v57, s[48:49]                  // 000000009BD0: D100003C 00C27337
	v_cmp_u_f32_e64 s[48:49], v215, v215                       // 000000009BD8: D0480030 0003AFD7
	v_add3_u32 v55, v215, v58, 1                               // 000000009BE0: D1FF0037 020675D7
	v_cndmask_b32_e64 v61, v55, v57, s[48:49]                  // 000000009BE8: D100003D 00C27337
	v_perm_b32 v203, v61, v60, s56                             // 000000009BF0: D1ED00CB 00E2793D
	s_mov_b32 s56, 0x7060302                                   // 000000009BF8: BEB800FF 07060302
	v_cmp_u_f32_e64 s[48:49], v216, v216                       // 000000009C00: D0480030 0003B1D8
	v_add3_u32 v55, v216, v58, 1                               // 000000009C08: D1FF0037 020675D8
	v_cndmask_b32_e64 v60, v55, v57, s[48:49]                  // 000000009C10: D100003C 00C27337
	v_cmp_u_f32_e64 s[48:49], v217, v217                       // 000000009C18: D0480030 0003B3D9
	v_add3_u32 v55, v217, v58, 1                               // 000000009C20: D1FF0037 020675D9
	v_cndmask_b32_e64 v61, v55, v57, s[48:49]                  // 000000009C28: D100003D 00C27337
	v_perm_b32 v204, v61, v60, s56                             // 000000009C30: D1ED00CC 00E2793D
	s_mov_b32 s56, 0x7060302                                   // 000000009C38: BEB800FF 07060302
	v_cmp_u_f32_e64 s[48:49], v218, v218                       // 000000009C40: D0480030 0003B5DA
	v_add3_u32 v55, v218, v58, 1                               // 000000009C48: D1FF0037 020675DA
	v_cndmask_b32_e64 v60, v55, v57, s[48:49]                  // 000000009C50: D100003C 00C27337
	v_cmp_u_f32_e64 s[48:49], v219, v219                       // 000000009C58: D0480030 0003B7DB
	v_add3_u32 v55, v219, v58, 1                               // 000000009C60: D1FF0037 020675DB
	v_cndmask_b32_e64 v61, v55, v57, s[48:49]                  // 000000009C68: D100003D 00C27337
	v_perm_b32 v205, v61, v60, s56                             // 000000009C70: D1ED00CD 00E2793D
	s_mov_b32 s56, 0x7060302                                   // 000000009C78: BEB800FF 07060302
	v_cmp_u_f32_e64 s[48:49], v220, v220                       // 000000009C80: D0480030 0003B9DC
	v_add3_u32 v55, v220, v58, 1                               // 000000009C88: D1FF0037 020675DC
	v_cndmask_b32_e64 v60, v55, v57, s[48:49]                  // 000000009C90: D100003C 00C27337
	v_cmp_u_f32_e64 s[48:49], v221, v221                       // 000000009C98: D0480030 0003BBDD
	v_add3_u32 v55, v221, v58, 1                               // 000000009CA0: D1FF0037 020675DD
	v_cndmask_b32_e64 v61, v55, v57, s[48:49]                  // 000000009CA8: D100003D 00C27337
	v_perm_b32 v206, v61, v60, s56                             // 000000009CB0: D1ED00CE 00E2793D
	s_mov_b32 s56, 0x7060302                                   // 000000009CB8: BEB800FF 07060302
	v_cmp_u_f32_e64 s[48:49], v222, v222                       // 000000009CC0: D0480030 0003BDDE
	v_add3_u32 v55, v222, v58, 1                               // 000000009CC8: D1FF0037 020675DE
	v_cndmask_b32_e64 v60, v55, v57, s[48:49]                  // 000000009CD0: D100003C 00C27337
	v_cmp_u_f32_e64 s[48:49], v223, v223                       // 000000009CD8: D0480030 0003BFDF
	v_add3_u32 v55, v223, v58, 1                               // 000000009CE0: D1FF0037 020675DF
	v_cndmask_b32_e64 v61, v55, v57, s[48:49]                  // 000000009CE8: D100003D 00C27337
	v_perm_b32 v207, v61, v60, s56                             // 000000009CF0: D1ED00CF 00E2793D
	s_mov_b32 s56, 0x7060302                                   // 000000009CF8: BEB800FF 07060302
	v_cmp_u_f32_e64 s[48:49], v224, v224                       // 000000009D00: D0480030 0003C1E0
	v_add3_u32 v55, v224, v58, 1                               // 000000009D08: D1FF0037 020675E0
	v_cndmask_b32_e64 v60, v55, v57, s[48:49]                  // 000000009D10: D100003C 00C27337
	v_cmp_u_f32_e64 s[48:49], v225, v225                       // 000000009D18: D0480030 0003C3E1
	v_add3_u32 v55, v225, v58, 1                               // 000000009D20: D1FF0037 020675E1
	v_cndmask_b32_e64 v61, v55, v57, s[48:49]                  // 000000009D28: D100003D 00C27337
	v_perm_b32 v208, v61, v60, s56                             // 000000009D30: D1ED00D0 00E2793D
	s_mov_b32 s56, 0x7060302                                   // 000000009D38: BEB800FF 07060302
	v_cmp_u_f32_e64 s[48:49], v226, v226                       // 000000009D40: D0480030 0003C5E2
	v_add3_u32 v55, v226, v58, 1                               // 000000009D48: D1FF0037 020675E2
	v_cndmask_b32_e64 v60, v55, v57, s[48:49]                  // 000000009D50: D100003C 00C27337
	v_cmp_u_f32_e64 s[48:49], v227, v227                       // 000000009D58: D0480030 0003C7E3
	v_add3_u32 v55, v227, v58, 1                               // 000000009D60: D1FF0037 020675E3
	v_cndmask_b32_e64 v61, v55, v57, s[48:49]                  // 000000009D68: D100003D 00C27337
	v_perm_b32 v209, v61, v60, s56                             // 000000009D70: D1ED00D1 00E2793D
	s_mov_b32 s56, 0x7060302                                   // 000000009D78: BEB800FF 07060302
	v_cmp_u_f32_e64 s[48:49], v228, v228                       // 000000009D80: D0480030 0003C9E4
	v_add3_u32 v55, v228, v58, 1                               // 000000009D88: D1FF0037 020675E4
	v_cndmask_b32_e64 v60, v55, v57, s[48:49]                  // 000000009D90: D100003C 00C27337
	v_cmp_u_f32_e64 s[48:49], v229, v229                       // 000000009D98: D0480030 0003CBE5
	v_add3_u32 v55, v229, v58, 1                               // 000000009DA0: D1FF0037 020675E5
	v_cndmask_b32_e64 v61, v55, v57, s[48:49]                  // 000000009DA8: D100003D 00C27337
	v_perm_b32 v210, v61, v60, s56                             // 000000009DB0: D1ED00D2 00E2793D
	s_mov_b32 s56, 0x7060302                                   // 000000009DB8: BEB800FF 07060302
	v_cmp_u_f32_e64 s[48:49], v230, v230                       // 000000009DC0: D0480030 0003CDE6
	v_add3_u32 v55, v230, v58, 1                               // 000000009DC8: D1FF0037 020675E6
	v_cndmask_b32_e64 v60, v55, v57, s[48:49]                  // 000000009DD0: D100003C 00C27337
	v_cmp_u_f32_e64 s[48:49], v231, v231                       // 000000009DD8: D0480030 0003CFE7
	v_add3_u32 v55, v231, v58, 1                               // 000000009DE0: D1FF0037 020675E7
	v_cndmask_b32_e64 v61, v55, v57, s[48:49]                  // 000000009DE8: D100003D 00C27337
	v_perm_b32 v211, v61, v60, s56                             // 000000009DF0: D1ED00D3 00E2793D
	s_mov_b32 s56, 0x7060302                                   // 000000009DF8: BEB800FF 07060302
	v_cmp_u_f32_e64 s[48:49], v232, v232                       // 000000009E00: D0480030 0003D1E8
	v_add3_u32 v55, v232, v58, 1                               // 000000009E08: D1FF0037 020675E8
	v_cndmask_b32_e64 v60, v55, v57, s[48:49]                  // 000000009E10: D100003C 00C27337
	v_cmp_u_f32_e64 s[48:49], v233, v233                       // 000000009E18: D0480030 0003D3E9
	v_add3_u32 v55, v233, v58, 1                               // 000000009E20: D1FF0037 020675E9
	v_cndmask_b32_e64 v61, v55, v57, s[48:49]                  // 000000009E28: D100003D 00C27337
	v_perm_b32 v212, v61, v60, s56                             // 000000009E30: D1ED00D4 00E2793D
	s_mov_b32 s56, 0x7060302                                   // 000000009E38: BEB800FF 07060302
	v_cmp_u_f32_e64 s[48:49], v234, v234                       // 000000009E40: D0480030 0003D5EA
	v_add3_u32 v55, v234, v58, 1                               // 000000009E48: D1FF0037 020675EA
	v_cndmask_b32_e64 v60, v55, v57, s[48:49]                  // 000000009E50: D100003C 00C27337
	v_cmp_u_f32_e64 s[48:49], v235, v235                       // 000000009E58: D0480030 0003D7EB
	v_add3_u32 v55, v235, v58, 1                               // 000000009E60: D1FF0037 020675EB
	v_cndmask_b32_e64 v61, v55, v57, s[48:49]                  // 000000009E68: D100003D 00C27337
	v_perm_b32 v213, v61, v60, s56                             // 000000009E70: D1ED00D5 00E2793D
	s_mov_b32 s56, 0x7060302                                   // 000000009E78: BEB800FF 07060302
	v_cmp_u_f32_e64 s[48:49], v236, v236                       // 000000009E80: D0480030 0003D9EC
	v_add3_u32 v55, v236, v58, 1                               // 000000009E88: D1FF0037 020675EC
	v_cndmask_b32_e64 v60, v55, v57, s[48:49]                  // 000000009E90: D100003C 00C27337
	v_cmp_u_f32_e64 s[48:49], v237, v237                       // 000000009E98: D0480030 0003DBED
	v_add3_u32 v55, v237, v58, 1                               // 000000009EA0: D1FF0037 020675ED
	v_cndmask_b32_e64 v61, v55, v57, s[48:49]                  // 000000009EA8: D100003D 00C27337
	v_perm_b32 v214, v61, v60, s56                             // 000000009EB0: D1ED00D6 00E2793D
	s_mov_b32 s56, 0x7060302                                   // 000000009EB8: BEB800FF 07060302
	v_cmp_u_f32_e64 s[48:49], v238, v238                       // 000000009EC0: D0480030 0003DDEE
	v_add3_u32 v55, v238, v58, 1                               // 000000009EC8: D1FF0037 020675EE
	v_cndmask_b32_e64 v60, v55, v57, s[48:49]                  // 000000009ED0: D100003C 00C27337
	v_cmp_u_f32_e64 s[48:49], v239, v239                       // 000000009ED8: D0480030 0003DFEF
	v_add3_u32 v55, v239, v58, 1                               // 000000009EE0: D1FF0037 020675EF
	v_cndmask_b32_e64 v61, v55, v57, s[48:49]                  // 000000009EE8: D100003D 00C27337
	v_perm_b32 v215, v61, v60, s56                             // 000000009EF0: D1ED00D7 00E2793D
	s_mov_b32 s56, 0x7060302                                   // 000000009EF8: BEB800FF 07060302
	v_cmp_u_f32_e64 s[48:49], v240, v240                       // 000000009F00: D0480030 0003E1F0
	v_add3_u32 v55, v240, v58, 1                               // 000000009F08: D1FF0037 020675F0
	v_cndmask_b32_e64 v60, v55, v57, s[48:49]                  // 000000009F10: D100003C 00C27337
	v_cmp_u_f32_e64 s[48:49], v241, v241                       // 000000009F18: D0480030 0003E3F1
	v_add3_u32 v55, v241, v58, 1                               // 000000009F20: D1FF0037 020675F1
	v_cndmask_b32_e64 v61, v55, v57, s[48:49]                  // 000000009F28: D100003D 00C27337
	v_perm_b32 v216, v61, v60, s56                             // 000000009F30: D1ED00D8 00E2793D
	s_mov_b32 s56, 0x7060302                                   // 000000009F38: BEB800FF 07060302
	v_cmp_u_f32_e64 s[48:49], v242, v242                       // 000000009F40: D0480030 0003E5F2
	v_add3_u32 v55, v242, v58, 1                               // 000000009F48: D1FF0037 020675F2
	v_cndmask_b32_e64 v60, v55, v57, s[48:49]                  // 000000009F50: D100003C 00C27337
	v_cmp_u_f32_e64 s[48:49], v243, v243                       // 000000009F58: D0480030 0003E7F3
	v_add3_u32 v55, v243, v58, 1                               // 000000009F60: D1FF0037 020675F3
	v_cndmask_b32_e64 v61, v55, v57, s[48:49]                  // 000000009F68: D100003D 00C27337
	v_perm_b32 v217, v61, v60, s56                             // 000000009F70: D1ED00D9 00E2793D
	s_mov_b32 s56, 0x7060302                                   // 000000009F78: BEB800FF 07060302
	v_cmp_u_f32_e64 s[48:49], v244, v244                       // 000000009F80: D0480030 0003E9F4
	v_add3_u32 v55, v244, v58, 1                               // 000000009F88: D1FF0037 020675F4
	v_cndmask_b32_e64 v60, v55, v57, s[48:49]                  // 000000009F90: D100003C 00C27337
	v_cmp_u_f32_e64 s[48:49], v245, v245                       // 000000009F98: D0480030 0003EBF5
	v_add3_u32 v55, v245, v58, 1                               // 000000009FA0: D1FF0037 020675F5
	v_cndmask_b32_e64 v61, v55, v57, s[48:49]                  // 000000009FA8: D100003D 00C27337
	v_perm_b32 v218, v61, v60, s56                             // 000000009FB0: D1ED00DA 00E2793D
	s_mov_b32 s56, 0x7060302                                   // 000000009FB8: BEB800FF 07060302
	v_cmp_u_f32_e64 s[48:49], v246, v246                       // 000000009FC0: D0480030 0003EDF6
	v_add3_u32 v55, v246, v58, 1                               // 000000009FC8: D1FF0037 020675F6
	v_cndmask_b32_e64 v60, v55, v57, s[48:49]                  // 000000009FD0: D100003C 00C27337
	v_cmp_u_f32_e64 s[48:49], v247, v247                       // 000000009FD8: D0480030 0003EFF7
	v_add3_u32 v55, v247, v58, 1                               // 000000009FE0: D1FF0037 020675F7
	v_cndmask_b32_e64 v61, v55, v57, s[48:49]                  // 000000009FE8: D100003D 00C27337
	v_perm_b32 v219, v61, v60, s56                             // 000000009FF0: D1ED00DB 00E2793D
	s_mov_b32 s56, 0x7060302                                   // 000000009FF8: BEB800FF 07060302
	v_cmp_u_f32_e64 s[48:49], v248, v248                       // 00000000A000: D0480030 0003F1F8
	v_add3_u32 v55, v248, v58, 1                               // 00000000A008: D1FF0037 020675F8
	v_cndmask_b32_e64 v60, v55, v57, s[48:49]                  // 00000000A010: D100003C 00C27337
	v_cmp_u_f32_e64 s[48:49], v249, v249                       // 00000000A018: D0480030 0003F3F9
	v_add3_u32 v55, v249, v58, 1                               // 00000000A020: D1FF0037 020675F9
	v_cndmask_b32_e64 v61, v55, v57, s[48:49]                  // 00000000A028: D100003D 00C27337
	v_perm_b32 v220, v61, v60, s56                             // 00000000A030: D1ED00DC 00E2793D
	s_mov_b32 s56, 0x7060302                                   // 00000000A038: BEB800FF 07060302
	v_cmp_u_f32_e64 s[48:49], v250, v250                       // 00000000A040: D0480030 0003F5FA
	v_add3_u32 v55, v250, v58, 1                               // 00000000A048: D1FF0037 020675FA
	v_cndmask_b32_e64 v60, v55, v57, s[48:49]                  // 00000000A050: D100003C 00C27337
	v_cmp_u_f32_e64 s[48:49], v251, v251                       // 00000000A058: D0480030 0003F7FB
	v_add3_u32 v55, v251, v58, 1                               // 00000000A060: D1FF0037 020675FB
	v_cndmask_b32_e64 v61, v55, v57, s[48:49]                  // 00000000A068: D100003D 00C27337
	v_perm_b32 v221, v61, v60, s56                             // 00000000A070: D1ED00DD 00E2793D
	s_mov_b32 s56, 0x7060302                                   // 00000000A078: BEB800FF 07060302
	v_cmp_u_f32_e64 s[48:49], v252, v252                       // 00000000A080: D0480030 0003F9FC
	v_add3_u32 v55, v252, v58, 1                               // 00000000A088: D1FF0037 020675FC
	v_cndmask_b32_e64 v60, v55, v57, s[48:49]                  // 00000000A090: D100003C 00C27337
	v_cmp_u_f32_e64 s[48:49], v253, v253                       // 00000000A098: D0480030 0003FBFD
	v_add3_u32 v55, v253, v58, 1                               // 00000000A0A0: D1FF0037 020675FD
	v_cndmask_b32_e64 v61, v55, v57, s[48:49]                  // 00000000A0A8: D100003D 00C27337
	v_perm_b32 v222, v61, v60, s56                             // 00000000A0B0: D1ED00DE 00E2793D
	s_mov_b32 s56, 0x7060302                                   // 00000000A0B8: BEB800FF 07060302
	v_cmp_u_f32_e64 s[48:49], v254, v254                       // 00000000A0C0: D0480030 0003FDFE
	v_add3_u32 v55, v254, v58, 1                               // 00000000A0C8: D1FF0037 020675FE
	v_cndmask_b32_e64 v60, v55, v57, s[48:49]                  // 00000000A0D0: D100003C 00C27337
	v_cmp_u_f32_e64 s[48:49], v255, v255                       // 00000000A0D8: D0480030 0003FFFF
	v_add3_u32 v55, v255, v58, 1                               // 00000000A0E0: D1FF0037 020675FF
	v_cndmask_b32_e64 v61, v55, v57, s[48:49]                  // 00000000A0E8: D100003D 00C27337
	v_perm_b32 v223, v61, v60, s56                             // 00000000A0F0: D1ED00DF 00E2793D
	ds_write_b64 v4, v[192:193]                                // 00000000A0F8: D89A0000 0000C004
	ds_write_b64 v4, v[194:195] offset:8704                    // 00000000A100: D89A2200 0000C204
	ds_write_b64 v5, v[196:197]                                // 00000000A108: D89A0000 0000C405
	ds_write_b64 v5, v[198:199] offset:8704                    // 00000000A110: D89A2200 0000C605
	ds_write_b64 v4, v[200:201] offset:2176                    // 00000000A118: D89A0880 0000C804
	ds_write_b64 v4, v[202:203] offset:10880                   // 00000000A120: D89A2A80 0000CA04
	ds_write_b64 v5, v[204:205] offset:2176                    // 00000000A128: D89A0880 0000CC05
	ds_write_b64 v5, v[206:207] offset:10880                   // 00000000A130: D89A2A80 0000CE05
	ds_write_b64 v4, v[208:209] offset:4352                    // 00000000A138: D89A1100 0000D004
	ds_write_b64 v4, v[210:211] offset:13056                   // 00000000A140: D89A3300 0000D204
	ds_write_b64 v5, v[212:213] offset:4352                    // 00000000A148: D89A1100 0000D405
	ds_write_b64 v5, v[214:215] offset:13056                   // 00000000A150: D89A3300 0000D605
	ds_write_b64 v4, v[216:217] offset:6528                    // 00000000A158: D89A1980 0000D804
	ds_write_b64 v4, v[218:219] offset:15232                   // 00000000A160: D89A3B80 0000DA04
	ds_write_b64 v5, v[220:221] offset:6528                    // 00000000A168: D89A1980 0000DC05
	ds_write_b64 v5, v[222:223] offset:15232                   // 00000000A170: D89A3B80 0000DE05
	s_waitcnt lgkmcnt(0)                                       // 00000000A178: BF8CC07F
	s_barrier                                                  // 00000000A17C: BF8A0000
	ds_read_b32 v64, v6                                        // 00000000A180: D86C0000 40000006
	ds_read_b32 v65, v6 offset:4352                            // 00000000A188: D86C1100 41000006
	ds_read_b32 v66, v6 offset:32                              // 00000000A190: D86C0020 42000006
	ds_read_b32 v67, v6 offset:4384                            // 00000000A198: D86C1120 43000006
	ds_read_b32 v68, v6 offset:64                              // 00000000A1A0: D86C0040 44000006
	ds_read_b32 v69, v6 offset:4416                            // 00000000A1A8: D86C1140 45000006
	ds_read_b32 v70, v6 offset:96                              // 00000000A1B0: D86C0060 46000006
	ds_read_b32 v71, v6 offset:4448                            // 00000000A1B8: D86C1160 47000006
	ds_read_b32 v72, v6 offset:8704                            // 00000000A1C0: D86C2200 48000006
	ds_read_b32 v73, v6 offset:13056                           // 00000000A1C8: D86C3300 49000006
	ds_read_b32 v74, v6 offset:8736                            // 00000000A1D0: D86C2220 4A000006
	ds_read_b32 v75, v6 offset:13088                           // 00000000A1D8: D86C3320 4B000006
	ds_read_b32 v76, v6 offset:8768                            // 00000000A1E0: D86C2240 4C000006
	ds_read_b32 v77, v6 offset:13120                           // 00000000A1E8: D86C3340 4D000006
	ds_read_b32 v78, v6 offset:8800                            // 00000000A1F0: D86C2260 4E000006
	ds_read_b32 v79, v6 offset:13152                           // 00000000A1F8: D86C3360 4F000006
	ds_read_b32 v80, v7                                        // 00000000A200: D86C0000 50000007
	ds_read_b32 v81, v7 offset:4352                            // 00000000A208: D86C1100 51000007
	ds_read_b32 v82, v7 offset:32                              // 00000000A210: D86C0020 52000007
	ds_read_b32 v83, v7 offset:4384                            // 00000000A218: D86C1120 53000007
	ds_read_b32 v84, v7 offset:64                              // 00000000A220: D86C0040 54000007
	ds_read_b32 v85, v7 offset:4416                            // 00000000A228: D86C1140 55000007
	ds_read_b32 v86, v7 offset:96                              // 00000000A230: D86C0060 56000007
	ds_read_b32 v87, v7 offset:4448                            // 00000000A238: D86C1160 57000007
	ds_read_b32 v88, v7 offset:8704                            // 00000000A240: D86C2200 58000007
	ds_read_b32 v89, v7 offset:13056                           // 00000000A248: D86C3300 59000007
	ds_read_b32 v90, v7 offset:8736                            // 00000000A250: D86C2220 5A000007
	ds_read_b32 v91, v7 offset:13088                           // 00000000A258: D86C3320 5B000007
	ds_read_b32 v92, v7 offset:8768                            // 00000000A260: D86C2240 5C000007
	ds_read_b32 v93, v7 offset:13120                           // 00000000A268: D86C3340 5D000007
	ds_read_b32 v94, v7 offset:8800                            // 00000000A270: D86C2260 5E000007
	ds_read_b32 v95, v7 offset:13152                           // 00000000A278: D86C3360 5F000007
	s_waitcnt lgkmcnt(0)                                       // 00000000A280: BF8CC07F
	s_setvskip s20, 0                                          // 00000000A284: BF108014
	global_atomic_pk_add_bf16 v96, v64, s[8:9]                 // 00000000A288: DD488000 00084060
	s_setvskip 0, 0                                            // 00000000A290: BF108080
	s_setvskip s20, 0                                          // 00000000A294: BF108014
	global_atomic_pk_add_bf16 v96, v65, s[8:9] offset:256      // 00000000A298: DD488100 00084160
	s_setvskip 0, 0                                            // 00000000A2A0: BF108080
	s_setvskip s20, 1                                          // 00000000A2A4: BF108114
	global_atomic_pk_add_bf16 v98, v66, s[8:9]                 // 00000000A2A8: DD488000 00084262
	s_setvskip 0, 0                                            // 00000000A2B0: BF108080
	s_setvskip s20, 1                                          // 00000000A2B4: BF108114
	global_atomic_pk_add_bf16 v98, v67, s[8:9] offset:256      // 00000000A2B8: DD488100 00084362
	s_setvskip 0, 0                                            // 00000000A2C0: BF108080
	s_setvskip s20, 2                                          // 00000000A2C4: BF108214
	global_atomic_pk_add_bf16 v100, v68, s[8:9]                // 00000000A2C8: DD488000 00084464
	s_setvskip 0, 0                                            // 00000000A2D0: BF108080
	s_setvskip s20, 2                                          // 00000000A2D4: BF108214
	global_atomic_pk_add_bf16 v100, v69, s[8:9] offset:256     // 00000000A2D8: DD488100 00084564
	s_setvskip 0, 0                                            // 00000000A2E0: BF108080
	s_setvskip s20, 3                                          // 00000000A2E4: BF108314
	global_atomic_pk_add_bf16 v102, v70, s[8:9]                // 00000000A2E8: DD488000 00084666
	s_setvskip 0, 0                                            // 00000000A2F0: BF108080
	s_setvskip s20, 3                                          // 00000000A2F4: BF108314
	global_atomic_pk_add_bf16 v102, v71, s[8:9] offset:256     // 00000000A2F8: DD488100 00084766
	s_setvskip 0, 0                                            // 00000000A300: BF108080
	s_setvskip s20, 4                                          // 00000000A304: BF108414
	global_atomic_pk_add_bf16 v104, v72, s[8:9]                // 00000000A308: DD488000 00084868
	s_setvskip 0, 0                                            // 00000000A310: BF108080
	s_setvskip s20, 4                                          // 00000000A314: BF108414
	global_atomic_pk_add_bf16 v104, v73, s[8:9] offset:256     // 00000000A318: DD488100 00084968
	s_setvskip 0, 0                                            // 00000000A320: BF108080
	s_setvskip s20, 5                                          // 00000000A324: BF108514
	global_atomic_pk_add_bf16 v106, v74, s[8:9]                // 00000000A328: DD488000 00084A6A
	s_setvskip 0, 0                                            // 00000000A330: BF108080
	s_setvskip s20, 5                                          // 00000000A334: BF108514
	global_atomic_pk_add_bf16 v106, v75, s[8:9] offset:256     // 00000000A338: DD488100 00084B6A
	s_setvskip 0, 0                                            // 00000000A340: BF108080
	s_setvskip s20, 6                                          // 00000000A344: BF108614
	global_atomic_pk_add_bf16 v108, v76, s[8:9]                // 00000000A348: DD488000 00084C6C
	s_setvskip 0, 0                                            // 00000000A350: BF108080
	s_setvskip s20, 6                                          // 00000000A354: BF108614
	global_atomic_pk_add_bf16 v108, v77, s[8:9] offset:256     // 00000000A358: DD488100 00084D6C
	s_setvskip 0, 0                                            // 00000000A360: BF108080
	s_setvskip s20, 7                                          // 00000000A364: BF108714
	global_atomic_pk_add_bf16 v110, v78, s[8:9]                // 00000000A368: DD488000 00084E6E
	s_setvskip 0, 0                                            // 00000000A370: BF108080
	s_setvskip s20, 7                                          // 00000000A374: BF108714
	global_atomic_pk_add_bf16 v110, v79, s[8:9] offset:256     // 00000000A378: DD488100 00084F6E
	s_setvskip 0, 0                                            // 00000000A380: BF108080
	s_setvskip s20, 8                                          // 00000000A384: BF108814
	global_atomic_pk_add_bf16 v112, v80, s[8:9]                // 00000000A388: DD488000 00085070
	s_setvskip 0, 0                                            // 00000000A390: BF108080
	s_setvskip s20, 8                                          // 00000000A394: BF108814
	global_atomic_pk_add_bf16 v112, v81, s[8:9] offset:256     // 00000000A398: DD488100 00085170
	s_setvskip 0, 0                                            // 00000000A3A0: BF108080
	s_setvskip s20, 9                                          // 00000000A3A4: BF108914
	global_atomic_pk_add_bf16 v114, v82, s[8:9]                // 00000000A3A8: DD488000 00085272
	s_setvskip 0, 0                                            // 00000000A3B0: BF108080
	s_setvskip s20, 9                                          // 00000000A3B4: BF108914
	global_atomic_pk_add_bf16 v114, v83, s[8:9] offset:256     // 00000000A3B8: DD488100 00085372
	s_setvskip 0, 0                                            // 00000000A3C0: BF108080
	s_setvskip s20, 10                                         // 00000000A3C4: BF108A14
	global_atomic_pk_add_bf16 v116, v84, s[8:9]                // 00000000A3C8: DD488000 00085474
	s_setvskip 0, 0                                            // 00000000A3D0: BF108080
	s_setvskip s20, 10                                         // 00000000A3D4: BF108A14
	global_atomic_pk_add_bf16 v116, v85, s[8:9] offset:256     // 00000000A3D8: DD488100 00085574
	s_setvskip 0, 0                                            // 00000000A3E0: BF108080
	s_setvskip s20, 11                                         // 00000000A3E4: BF108B14
	global_atomic_pk_add_bf16 v118, v86, s[8:9]                // 00000000A3E8: DD488000 00085676
	s_setvskip 0, 0                                            // 00000000A3F0: BF108080
	s_setvskip s20, 11                                         // 00000000A3F4: BF108B14
	global_atomic_pk_add_bf16 v118, v87, s[8:9] offset:256     // 00000000A3F8: DD488100 00085776
	s_setvskip 0, 0                                            // 00000000A400: BF108080
	s_setvskip s20, 12                                         // 00000000A404: BF108C14
	global_atomic_pk_add_bf16 v120, v88, s[8:9]                // 00000000A408: DD488000 00085878
	s_setvskip 0, 0                                            // 00000000A410: BF108080
	s_setvskip s20, 12                                         // 00000000A414: BF108C14
	global_atomic_pk_add_bf16 v120, v89, s[8:9] offset:256     // 00000000A418: DD488100 00085978
	s_setvskip 0, 0                                            // 00000000A420: BF108080
	s_setvskip s20, 13                                         // 00000000A424: BF108D14
	global_atomic_pk_add_bf16 v122, v90, s[8:9]                // 00000000A428: DD488000 00085A7A
	s_setvskip 0, 0                                            // 00000000A430: BF108080
	s_setvskip s20, 13                                         // 00000000A434: BF108D14
	global_atomic_pk_add_bf16 v122, v91, s[8:9] offset:256     // 00000000A438: DD488100 00085B7A
	s_setvskip 0, 0                                            // 00000000A440: BF108080
	s_setvskip s20, 14                                         // 00000000A444: BF108E14
	global_atomic_pk_add_bf16 v124, v92, s[8:9]                // 00000000A448: DD488000 00085C7C
	s_setvskip 0, 0                                            // 00000000A450: BF108080
	s_setvskip s20, 14                                         // 00000000A454: BF108E14
	global_atomic_pk_add_bf16 v124, v93, s[8:9] offset:256     // 00000000A458: DD488100 00085D7C
	s_setvskip 0, 0                                            // 00000000A460: BF108080
	s_setvskip s20, 15                                         // 00000000A464: BF108F14
	global_atomic_pk_add_bf16 v126, v94, s[8:9]                // 00000000A468: DD488000 00085E7E
	s_setvskip 0, 0                                            // 00000000A470: BF108080
	s_setvskip s20, 15                                         // 00000000A474: BF108F14
	global_atomic_pk_add_bf16 v126, v95, s[8:9] offset:256     // 00000000A478: DD488100 00085F7E
	s_setvskip 0, 0                                            // 00000000A480: BF108080
	s_add_u32 s8, s55, s8                                      // 00000000A484: 80080837
	s_addc_u32 s9, 0, s9                                       // 00000000A488: 82090980
	s_addk_i32 s76, 0x100                                      // 00000000A48C: B74C0100
	s_cmp_lt_i32 s76, s77                                      // 00000000A490: BF044D4C
	s_cbranch_scc0 label_1DA7                                  // 00000000A494: BF840001
	s_branch label_1370                                        // 00000000A498: BF82F5C9

000000000000a49c <label_1DA7>:
	s_nop 0                                                    // 00000000A49C: BF800000
	s_nop 0                                                    // 00000000A4A0: BF800000
	s_branch label_3717                                        // 00000000A4A4: BF82196D

000000000000a4a8 <label_1DAA>:
	s_waitcnt vmcnt(8) lgkmcnt(0)                              // 00000000A4A8: BF8C0078
	s_barrier                                                  // 00000000A4AC: BF8A0000
	v_mfma_f32_16x16x32_fp8_fp8 v[192:195], a[0:1], a[128:129], 0// 00000000A4B0: D3F300C0 1A030100
	buffer_load_dwordx4 a[64:67], v47, s[96:99], 0 offen       // 00000000A4B8: E05C1000 8098402F
	v_mfma_f32_16x16x32_fp8_fp8 v[192:195], a[2:3], a[130:131], v[192:195]// 00000000A4C0: D3F300C0 1F030502
	v_mfma_f32_16x16x32_fp8_fp8 v[192:195], a[4:5], a[132:133], v[192:195]// 00000000A4C8: D3F300C0 1F030904
	buffer_load_dword v43, s[20:23], 0 offen lds               // 00000000A4D0: E0511000 8005002B
	s_mul_i32 s56, s80, s64                                    // 00000000A4D8: 92384050
	v_lshl_add_u32 v45, v0, 2, s56                             // 00000000A4DC: D1FD002D 00E10500
	s_add_u32 m0, 0x100, s49                                   // 00000000A4E4: 807C31FF 00000100
	v_mfma_f32_16x16x32_fp8_fp8 v[192:195], a[6:7], a[134:135], v[192:195]// 00000000A4EC: D3F300C0 1F030D06
	v_mfma_f32_16x16x32_fp8_fp8 v[196:199], a[0:1], a[144:145], 0// 00000000A4F4: D3F300C4 1A032100
	v_mfma_f32_16x16x32_fp8_fp8 v[196:199], a[2:3], a[146:147], v[196:199]// 00000000A4FC: D3F300C4 1F132502
	v_mfma_f32_16x16x32_fp8_fp8 v[196:199], a[4:5], a[148:149], v[196:199]// 00000000A504: D3F300C4 1F132904
	buffer_load_dword v44, s[20:23], 0 offen lds               // 00000000A50C: E0511000 8005002C
	s_mul_i32 s56, s81, s64                                    // 00000000A514: 92384051
	v_lshl_add_u32 v46, v0, 2, s56                             // 00000000A518: D1FD002E 00E10500
	s_add_u32 m0, 0x200, s49                                   // 00000000A520: 807C31FF 00000200
	v_mfma_f32_16x16x32_fp8_fp8 v[196:199], a[6:7], a[150:151], v[196:199]// 00000000A528: D3F300C4 1F132D06
	v_mfma_f32_16x16x32_fp8_fp8 v[200:203], a[0:1], a[160:161], 0// 00000000A530: D3F300C8 1A034100
	buffer_load_dwordx4 a[68:71], v47, s[96:99], 0 offen offset:1024// 00000000A538: E05C1400 8098442F
	v_mfma_f32_16x16x32_fp8_fp8 v[200:203], a[2:3], a[162:163], v[200:203]// 00000000A540: D3F300C8 1F234502
	v_mfma_f32_16x16x32_fp8_fp8 v[200:203], a[4:5], a[164:165], v[200:203]// 00000000A548: D3F300C8 1F234904
	buffer_load_dword v45, s[20:23], 0 offen lds               // 00000000A550: E0511000 8005002D
	s_mul_i32 s56, s82, s64                                    // 00000000A558: 92384052
	v_lshl_add_u32 v43, v0, 2, s56                             // 00000000A55C: D1FD002B 00E10500
	s_add_u32 m0, 0x300, s49                                   // 00000000A564: 807C31FF 00000300
	v_mfma_f32_16x16x32_fp8_fp8 v[200:203], a[6:7], a[166:167], v[200:203]// 00000000A56C: D3F300C8 1F234D06
	v_mfma_f32_16x16x32_fp8_fp8 v[204:207], a[0:1], a[176:177], 0// 00000000A574: D3F300CC 1A036100
	v_mfma_f32_16x16x32_fp8_fp8 v[204:207], a[2:3], a[178:179], v[204:207]// 00000000A57C: D3F300CC 1F336502
	v_mfma_f32_16x16x32_fp8_fp8 v[204:207], a[4:5], a[180:181], v[204:207]// 00000000A584: D3F300CC 1F336904
	buffer_load_dword v46, s[20:23], 0 offen lds               // 00000000A58C: E0511000 8005002E
	s_mul_i32 s56, s83, s64                                    // 00000000A594: 92384053
	v_lshl_add_u32 v44, v0, 2, s56                             // 00000000A598: D1FD002C 00E10500
	s_add_u32 m0, 0x400, s49                                   // 00000000A5A0: 807C31FF 00000400
	v_mfma_f32_16x16x32_fp8_fp8 v[204:207], a[6:7], a[182:183], v[204:207]// 00000000A5A8: D3F300CC 1F336D06
	v_mfma_f32_16x16x32_fp8_fp8 v[208:211], a[16:17], a[128:129], 0// 00000000A5B0: D3F300D0 1A030110
	buffer_load_dwordx4 a[80:83], v48, s[96:99], 0 offen       // 00000000A5B8: E05C1000 80985030
	v_mfma_f32_16x16x32_fp8_fp8 v[208:211], a[18:19], a[130:131], v[208:211]// 00000000A5C0: D3F300D0 1F430512
	v_mfma_f32_16x16x32_fp8_fp8 v[208:211], a[20:21], a[132:133], v[208:211]// 00000000A5C8: D3F300D0 1F430914
	buffer_load_dword v43, s[20:23], 0 offen lds               // 00000000A5D0: E0511000 8005002B
	s_mul_i32 s56, s84, s64                                    // 00000000A5D8: 92384054
	v_lshl_add_u32 v45, v0, 2, s56                             // 00000000A5DC: D1FD002D 00E10500
	s_add_u32 m0, 0x500, s49                                   // 00000000A5E4: 807C31FF 00000500
	v_mfma_f32_16x16x32_fp8_fp8 v[208:211], a[22:23], a[134:135], v[208:211]// 00000000A5EC: D3F300D0 1F430D16
	v_mfma_f32_16x16x32_fp8_fp8 v[212:215], a[16:17], a[144:145], 0// 00000000A5F4: D3F300D4 1A032110
	v_mfma_f32_16x16x32_fp8_fp8 v[212:215], a[18:19], a[146:147], v[212:215]// 00000000A5FC: D3F300D4 1F532512
	v_mfma_f32_16x16x32_fp8_fp8 v[212:215], a[20:21], a[148:149], v[212:215]// 00000000A604: D3F300D4 1F532914
	buffer_load_dword v44, s[20:23], 0 offen lds               // 00000000A60C: E0511000 8005002C
	s_mul_i32 s56, s85, s64                                    // 00000000A614: 92384055
	v_lshl_add_u32 v46, v0, 2, s56                             // 00000000A618: D1FD002E 00E10500
	s_add_u32 m0, 0x600, s49                                   // 00000000A620: 807C31FF 00000600
	v_mfma_f32_16x16x32_fp8_fp8 v[212:215], a[22:23], a[150:151], v[212:215]// 00000000A628: D3F300D4 1F532D16
	v_mfma_f32_16x16x32_fp8_fp8 v[216:219], a[16:17], a[160:161], 0// 00000000A630: D3F300D8 1A034110
	buffer_load_dwordx4 a[84:87], v48, s[96:99], 0 offen offset:1024// 00000000A638: E05C1400 80985430
	v_mfma_f32_16x16x32_fp8_fp8 v[216:219], a[18:19], a[162:163], v[216:219]// 00000000A640: D3F300D8 1F634512
	v_mfma_f32_16x16x32_fp8_fp8 v[216:219], a[20:21], a[164:165], v[216:219]// 00000000A648: D3F300D8 1F634914
	buffer_load_dword v45, s[20:23], 0 offen lds               // 00000000A650: E0511000 8005002D
	s_mul_i32 s56, s86, s64                                    // 00000000A658: 92384056
	v_lshl_add_u32 v43, v0, 2, s56                             // 00000000A65C: D1FD002B 00E10500
	s_add_u32 m0, 0x700, s49                                   // 00000000A664: 807C31FF 00000700
	v_mfma_f32_16x16x32_fp8_fp8 v[216:219], a[22:23], a[166:167], v[216:219]// 00000000A66C: D3F300D8 1F634D16
	v_mfma_f32_16x16x32_fp8_fp8 v[220:223], a[16:17], a[176:177], 0// 00000000A674: D3F300DC 1A036110
	v_mfma_f32_16x16x32_fp8_fp8 v[220:223], a[18:19], a[178:179], v[220:223]// 00000000A67C: D3F300DC 1F736512
	v_mfma_f32_16x16x32_fp8_fp8 v[220:223], a[20:21], a[180:181], v[220:223]// 00000000A684: D3F300DC 1F736914
	buffer_load_dword v46, s[20:23], 0 offen lds               // 00000000A68C: E0511000 8005002E
	s_mul_i32 s56, s87, s64                                    // 00000000A694: 92384057
	v_lshl_add_u32 v44, v0, 2, s56                             // 00000000A698: D1FD002C 00E10500
	s_add_u32 m0, 0x800, s49                                   // 00000000A6A0: 807C31FF 00000800
	v_mfma_f32_16x16x32_fp8_fp8 v[220:223], a[22:23], a[182:183], v[220:223]// 00000000A6A8: D3F300DC 1F736D16
	s_waitcnt vmcnt(31)                                        // 00000000A6B0: BF8C4F7F
	v_mfma_f32_16x16x32_fp8_fp8 v[224:227], a[32:33], a[128:129], 0// 00000000A6B4: D3F300E0 1A030120
	buffer_load_dwordx4 a[96:99], v49, s[96:99], 0 offen       // 00000000A6BC: E05C1000 80986031
	v_mfma_f32_16x16x32_fp8_fp8 v[224:227], a[34:35], a[130:131], v[224:227]// 00000000A6C4: D3F300E0 1F830522
	v_mfma_f32_16x16x32_fp8_fp8 v[224:227], a[36:37], a[132:133], v[224:227]// 00000000A6CC: D3F300E0 1F830924
	buffer_load_dword v43, s[20:23], 0 offen lds               // 00000000A6D4: E0511000 8005002B
	s_mul_i32 s56, s88, s64                                    // 00000000A6DC: 92384058
	v_lshl_add_u32 v45, v0, 2, s56                             // 00000000A6E0: D1FD002D 00E10500
	s_add_u32 m0, 0x900, s49                                   // 00000000A6E8: 807C31FF 00000900
	v_mfma_f32_16x16x32_fp8_fp8 v[224:227], a[38:39], a[134:135], v[224:227]// 00000000A6F0: D3F300E0 1F830D26
	v_mfma_f32_16x16x32_fp8_fp8 v[228:231], a[32:33], a[144:145], 0// 00000000A6F8: D3F300E4 1A032120
	v_mfma_f32_16x16x32_fp8_fp8 v[228:231], a[34:35], a[146:147], v[228:231]// 00000000A700: D3F300E4 1F932522
	v_mfma_f32_16x16x32_fp8_fp8 v[228:231], a[36:37], a[148:149], v[228:231]// 00000000A708: D3F300E4 1F932924
	buffer_load_dword v44, s[20:23], 0 offen lds               // 00000000A710: E0511000 8005002C
	s_mul_i32 s56, s89, s64                                    // 00000000A718: 92384059
	v_lshl_add_u32 v46, v0, 2, s56                             // 00000000A71C: D1FD002E 00E10500
	s_add_u32 m0, 0xa00, s49                                   // 00000000A724: 807C31FF 00000A00
	v_mfma_f32_16x16x32_fp8_fp8 v[228:231], a[38:39], a[150:151], v[228:231]// 00000000A72C: D3F300E4 1F932D26
	v_mfma_f32_16x16x32_fp8_fp8 v[232:235], a[32:33], a[160:161], 0// 00000000A734: D3F300E8 1A034120
	buffer_load_dwordx4 a[100:103], v49, s[96:99], 0 offen offset:1024// 00000000A73C: E05C1400 80986431
	v_mfma_f32_16x16x32_fp8_fp8 v[232:235], a[34:35], a[162:163], v[232:235]// 00000000A744: D3F300E8 1FA34522
	v_mfma_f32_16x16x32_fp8_fp8 v[232:235], a[36:37], a[164:165], v[232:235]// 00000000A74C: D3F300E8 1FA34924
	buffer_load_dword v45, s[20:23], 0 offen lds               // 00000000A754: E0511000 8005002D
	s_mul_i32 s56, s90, s64                                    // 00000000A75C: 9238405A
	v_lshl_add_u32 v43, v0, 2, s56                             // 00000000A760: D1FD002B 00E10500
	s_add_u32 m0, 0xb00, s49                                   // 00000000A768: 807C31FF 00000B00
	v_mfma_f32_16x16x32_fp8_fp8 v[232:235], a[38:39], a[166:167], v[232:235]// 00000000A770: D3F300E8 1FA34D26
	v_mfma_f32_16x16x32_fp8_fp8 v[236:239], a[32:33], a[176:177], 0// 00000000A778: D3F300EC 1A036120
	v_mfma_f32_16x16x32_fp8_fp8 v[236:239], a[34:35], a[178:179], v[236:239]// 00000000A780: D3F300EC 1FB36522
	v_mfma_f32_16x16x32_fp8_fp8 v[236:239], a[36:37], a[180:181], v[236:239]// 00000000A788: D3F300EC 1FB36924
	buffer_load_dword v46, s[20:23], 0 offen lds               // 00000000A790: E0511000 8005002E
	s_mul_i32 s56, s91, s64                                    // 00000000A798: 9238405B
	v_lshl_add_u32 v44, v0, 2, s56                             // 00000000A79C: D1FD002C 00E10500
	s_add_u32 m0, 0xc00, s49                                   // 00000000A7A4: 807C31FF 00000C00
	v_mfma_f32_16x16x32_fp8_fp8 v[236:239], a[38:39], a[182:183], v[236:239]// 00000000A7AC: D3F300EC 1FB36D26
	s_waitcnt vmcnt(31)                                        // 00000000A7B4: BF8C4F7F
	v_mfma_f32_16x16x32_fp8_fp8 v[240:243], a[48:49], a[128:129], 0// 00000000A7B8: D3F300F0 1A030130
	buffer_load_dwordx4 a[112:115], v50, s[96:99], 0 offen     // 00000000A7C0: E05C1000 80987032
	v_mfma_f32_16x16x32_fp8_fp8 v[240:243], a[50:51], a[130:131], v[240:243]// 00000000A7C8: D3F300F0 1FC30532
	v_mfma_f32_16x16x32_fp8_fp8 v[240:243], a[52:53], a[132:133], v[240:243]// 00000000A7D0: D3F300F0 1FC30934
	buffer_load_dword v43, s[20:23], 0 offen lds               // 00000000A7D8: E0511000 8005002B
	s_mul_i32 s56, s92, s64                                    // 00000000A7E0: 9238405C
	v_lshl_add_u32 v45, v0, 2, s56                             // 00000000A7E4: D1FD002D 00E10500
	s_add_u32 m0, 0xd00, s49                                   // 00000000A7EC: 807C31FF 00000D00
	v_mfma_f32_16x16x32_fp8_fp8 v[240:243], a[54:55], a[134:135], v[240:243]// 00000000A7F4: D3F300F0 1FC30D36
	v_mfma_f32_16x16x32_fp8_fp8 v[244:247], a[48:49], a[144:145], 0// 00000000A7FC: D3F300F4 1A032130
	v_mfma_f32_16x16x32_fp8_fp8 v[244:247], a[50:51], a[146:147], v[244:247]// 00000000A804: D3F300F4 1FD32532
	v_mfma_f32_16x16x32_fp8_fp8 v[244:247], a[52:53], a[148:149], v[244:247]// 00000000A80C: D3F300F4 1FD32934
	buffer_load_dword v44, s[20:23], 0 offen lds               // 00000000A814: E0511000 8005002C
	s_mul_i32 s56, s93, s64                                    // 00000000A81C: 9238405D
	v_lshl_add_u32 v46, v0, 2, s56                             // 00000000A820: D1FD002E 00E10500
	s_add_u32 m0, 0xe00, s49                                   // 00000000A828: 807C31FF 00000E00
	v_mfma_f32_16x16x32_fp8_fp8 v[244:247], a[54:55], a[150:151], v[244:247]// 00000000A830: D3F300F4 1FD32D36
	v_mfma_f32_16x16x32_fp8_fp8 v[248:251], a[48:49], a[160:161], 0// 00000000A838: D3F300F8 1A034130
	buffer_load_dwordx4 a[116:119], v50, s[96:99], 0 offen offset:1024// 00000000A840: E05C1400 80987432
	v_mfma_f32_16x16x32_fp8_fp8 v[248:251], a[50:51], a[162:163], v[248:251]// 00000000A848: D3F300F8 1FE34532
	v_mfma_f32_16x16x32_fp8_fp8 v[248:251], a[52:53], a[164:165], v[248:251]// 00000000A850: D3F300F8 1FE34934
	buffer_load_dword v45, s[20:23], 0 offen lds               // 00000000A858: E0511000 8005002D
	s_mul_i32 s56, s78, s64                                    // 00000000A860: 9238404E
	v_lshl_add_u32 v43, v0, 2, s56                             // 00000000A864: D1FD002B 00E10500
	s_add_u32 m0, 0xf00, s49                                   // 00000000A86C: 807C31FF 00000F00
	v_mfma_f32_16x16x32_fp8_fp8 v[248:251], a[54:55], a[166:167], v[248:251]// 00000000A874: D3F300F8 1FE34D36
	v_mfma_f32_16x16x32_fp8_fp8 v[252:255], a[48:49], a[176:177], 0// 00000000A87C: D3F300FC 1A036130
	v_mfma_f32_16x16x32_fp8_fp8 v[252:255], a[50:51], a[178:179], v[252:255]// 00000000A884: D3F300FC 1FF36532
	v_mfma_f32_16x16x32_fp8_fp8 v[252:255], a[52:53], a[180:181], v[252:255]// 00000000A88C: D3F300FC 1FF36934
	buffer_load_dword v46, s[20:23], 0 offen lds               // 00000000A894: E0511000 8005002E
	s_mul_i32 s56, s79, s64                                    // 00000000A89C: 9238404F
	v_lshl_add_u32 v44, v0, 2, s56                             // 00000000A8A0: D1FD002C 00E10500
	s_add_u32 m0, s49, s72                                     // 00000000A8A8: 807C4831
	buffer_load_dword v9, s[28:31], 0 offen lds                // 00000000A8AC: E0511000 80070009
	s_add_u32 m0, m0, 0x400                                    // 00000000A8B4: 807CFF7C 00000400
	buffer_load_dword v11, s[28:31], 0 offen lds               // 00000000A8BC: E0511000 8007000B
	s_add_u32 m0, 0, s48                                       // 00000000A8C4: 807C3080
	buffer_load_dword v38, v19, s[32:35], 0 offen              // 00000000A8C8: E0501000 80082613
	v_mfma_f32_16x16x32_fp8_fp8 v[252:255], a[54:55], a[182:183], v[252:255]// 00000000A8D0: D3F300FC 1FF36D36
	v_mul_f32_dpp v60, v37, v21 row_newbcast:0 row_mask:0xf bank_mask:0xf// 00000000A8D8: 0A782AFA FF015025
	v_mov_b32_e32 v61, v60                                     // 00000000A8E0: 7E7A033C
	v_pk_fma_f32 v[64:65], v[192:193], v[60:61], v[64:65]      // 00000000A8E4: D3B04040 1D0279C0
	v_pk_fma_f32 v[66:67], v[194:195], v[60:61], v[66:67]      // 00000000A8EC: D3B04042 1D0A79C2
	v_pk_fma_f32 v[80:81], v[208:209], v[60:61], v[80:81]      // 00000000A8F4: D3B04050 1D4279D0
	v_pk_fma_f32 v[82:83], v[210:211], v[60:61], v[82:83]      // 00000000A8FC: D3B04052 1D4A79D2
	v_mul_f32_dpp v60, v37, v21 row_newbcast:1 row_mask:0xf bank_mask:0xf// 00000000A904: 0A782AFA FF015125
	v_mov_b32_e32 v61, v60                                     // 00000000A90C: 7E7A033C
	v_pk_fma_f32 v[96:97], v[224:225], v[60:61], v[96:97]      // 00000000A910: D3B04060 1D8279E0
	v_pk_fma_f32 v[98:99], v[226:227], v[60:61], v[98:99]      // 00000000A918: D3B04062 1D8A79E2
	v_pk_fma_f32 v[112:113], v[240:241], v[60:61], v[112:113]  // 00000000A920: D3B04070 1DC279F0
	v_pk_fma_f32 v[114:115], v[242:243], v[60:61], v[114:115]  // 00000000A928: D3B04072 1DCA79F2
	v_mul_f32_dpp v60, v37, v22 row_newbcast:0 row_mask:0xf bank_mask:0xf// 00000000A930: 0A782CFA FF015025
	v_mov_b32_e32 v61, v60                                     // 00000000A938: 7E7A033C
	v_pk_fma_f32 v[68:69], v[196:197], v[60:61], v[68:69]      // 00000000A93C: D3B04044 1D1279C4
	v_pk_fma_f32 v[70:71], v[198:199], v[60:61], v[70:71]      // 00000000A944: D3B04046 1D1A79C6
	v_pk_fma_f32 v[84:85], v[212:213], v[60:61], v[84:85]      // 00000000A94C: D3B04054 1D5279D4
	v_pk_fma_f32 v[86:87], v[214:215], v[60:61], v[86:87]      // 00000000A954: D3B04056 1D5A79D6
	v_mul_f32_dpp v60, v37, v22 row_newbcast:1 row_mask:0xf bank_mask:0xf// 00000000A95C: 0A782CFA FF015125
	v_mov_b32_e32 v61, v60                                     // 00000000A964: 7E7A033C
	v_pk_fma_f32 v[100:101], v[228:229], v[60:61], v[100:101]  // 00000000A968: D3B04064 1D9279E4
	v_pk_fma_f32 v[102:103], v[230:231], v[60:61], v[102:103]  // 00000000A970: D3B04066 1D9A79E6
	v_pk_fma_f32 v[116:117], v[244:245], v[60:61], v[116:117]  // 00000000A978: D3B04074 1DD279F4
	v_pk_fma_f32 v[118:119], v[246:247], v[60:61], v[118:119]  // 00000000A980: D3B04076 1DDA79F6
	v_mul_f32_dpp v60, v37, v23 row_newbcast:0 row_mask:0xf bank_mask:0xf// 00000000A988: 0A782EFA FF015025
	v_mov_b32_e32 v61, v60                                     // 00000000A990: 7E7A033C
	v_pk_fma_f32 v[72:73], v[200:201], v[60:61], v[72:73]      // 00000000A994: D3B04048 1D2279C8
	v_pk_fma_f32 v[74:75], v[202:203], v[60:61], v[74:75]      // 00000000A99C: D3B0404A 1D2A79CA
	v_pk_fma_f32 v[88:89], v[216:217], v[60:61], v[88:89]      // 00000000A9A4: D3B04058 1D6279D8
	v_pk_fma_f32 v[90:91], v[218:219], v[60:61], v[90:91]      // 00000000A9AC: D3B0405A 1D6A79DA
	v_mul_f32_dpp v60, v37, v23 row_newbcast:1 row_mask:0xf bank_mask:0xf// 00000000A9B4: 0A782EFA FF015125
	v_mov_b32_e32 v61, v60                                     // 00000000A9BC: 7E7A033C
	v_pk_fma_f32 v[104:105], v[232:233], v[60:61], v[104:105]  // 00000000A9C0: D3B04068 1DA279E8
	v_pk_fma_f32 v[106:107], v[234:235], v[60:61], v[106:107]  // 00000000A9C8: D3B0406A 1DAA79EA
	v_pk_fma_f32 v[120:121], v[248:249], v[60:61], v[120:121]  // 00000000A9D0: D3B04078 1DE279F8
	v_pk_fma_f32 v[122:123], v[250:251], v[60:61], v[122:123]  // 00000000A9D8: D3B0407A 1DEA79FA
	v_mul_f32_dpp v60, v37, v24 row_newbcast:0 row_mask:0xf bank_mask:0xf// 00000000A9E0: 0A7830FA FF015025
	v_mov_b32_e32 v61, v60                                     // 00000000A9E8: 7E7A033C
	v_pk_fma_f32 v[76:77], v[204:205], v[60:61], v[76:77]      // 00000000A9EC: D3B0404C 1D3279CC
	v_pk_fma_f32 v[78:79], v[206:207], v[60:61], v[78:79]      // 00000000A9F4: D3B0404E 1D3A79CE
	v_pk_fma_f32 v[92:93], v[220:221], v[60:61], v[92:93]      // 00000000A9FC: D3B0405C 1D7279DC
	v_pk_fma_f32 v[94:95], v[222:223], v[60:61], v[94:95]      // 00000000AA04: D3B0405E 1D7A79DE
	v_mul_f32_dpp v60, v37, v24 row_newbcast:1 row_mask:0xf bank_mask:0xf// 00000000AA0C: 0A7830FA FF015125
	v_mov_b32_e32 v61, v60                                     // 00000000AA14: 7E7A033C
	v_pk_fma_f32 v[108:109], v[236:237], v[60:61], v[108:109]  // 00000000AA18: D3B0406C 1DB279EC
	v_pk_fma_f32 v[110:111], v[238:239], v[60:61], v[110:111]  // 00000000AA20: D3B0406E 1DBA79EE
	v_pk_fma_f32 v[124:125], v[252:253], v[60:61], v[124:125]  // 00000000AA28: D3B0407C 1DF279FC
	v_pk_fma_f32 v[126:127], v[254:255], v[60:61], v[126:127]  // 00000000AA30: D3B0407E 1DFA79FE
	s_waitcnt vmcnt(31)                                        // 00000000AA38: BF8C4F7F
	v_mfma_f32_16x16x32_fp8_fp8 v[192:195], a[8:9], a[136:137], 0// 00000000AA3C: D3F300C0 1A031108
	buffer_load_dwordx4 a[72:75], v47, s[96:99], 0 offen offset:2048// 00000000AA44: E05C1800 8098482F
	v_mfma_f32_16x16x32_fp8_fp8 v[192:195], a[10:11], a[138:139], v[192:195]// 00000000AA4C: D3F300C0 1F03150A
	v_mfma_f32_16x16x32_fp8_fp8 v[192:195], a[12:13], a[140:141], v[192:195]// 00000000AA54: D3F300C0 1F03190C
	v_mfma_f32_16x16x32_fp8_fp8 v[192:195], a[14:15], a[142:143], v[192:195]// 00000000AA5C: D3F300C0 1F031D0E
	v_mfma_f32_16x16x32_fp8_fp8 v[196:199], a[8:9], a[152:153], 0// 00000000AA64: D3F300C4 1A033108
	v_mfma_f32_16x16x32_fp8_fp8 v[196:199], a[10:11], a[154:155], v[196:199]// 00000000AA6C: D3F300C4 1F13350A
	v_mfma_f32_16x16x32_fp8_fp8 v[196:199], a[12:13], a[156:157], v[196:199]// 00000000AA74: D3F300C4 1F13390C
	v_mfma_f32_16x16x32_fp8_fp8 v[196:199], a[14:15], a[158:159], v[196:199]// 00000000AA7C: D3F300C4 1F133D0E
	v_mfma_f32_16x16x32_fp8_fp8 v[200:203], a[8:9], a[168:169], 0// 00000000AA84: D3F300C8 1A035108
	buffer_load_dwordx4 a[76:79], v47, s[96:99], 0 offen offset:3072// 00000000AA8C: E05C1C00 80984C2F
	v_mfma_f32_16x16x32_fp8_fp8 v[200:203], a[10:11], a[170:171], v[200:203]// 00000000AA94: D3F300C8 1F23550A
	v_mfma_f32_16x16x32_fp8_fp8 v[200:203], a[12:13], a[172:173], v[200:203]// 00000000AA9C: D3F300C8 1F23590C
	v_mfma_f32_16x16x32_fp8_fp8 v[200:203], a[14:15], a[174:175], v[200:203]// 00000000AAA4: D3F300C8 1F235D0E
	v_mfma_f32_16x16x32_fp8_fp8 v[204:207], a[8:9], a[184:185], 0// 00000000AAAC: D3F300CC 1A037108
	v_mfma_f32_16x16x32_fp8_fp8 v[204:207], a[10:11], a[186:187], v[204:207]// 00000000AAB4: D3F300CC 1F33750A
	v_mfma_f32_16x16x32_fp8_fp8 v[204:207], a[12:13], a[188:189], v[204:207]// 00000000AABC: D3F300CC 1F33790C
	v_mfma_f32_16x16x32_fp8_fp8 v[204:207], a[14:15], a[190:191], v[204:207]// 00000000AAC4: D3F300CC 1F337D0E
	s_waitcnt vmcnt(31)                                        // 00000000AACC: BF8C4F7F
	v_mfma_f32_16x16x32_fp8_fp8 v[208:211], a[24:25], a[136:137], 0// 00000000AAD0: D3F300D0 1A031118
	buffer_load_dwordx4 a[88:91], v48, s[96:99], 0 offen offset:2048// 00000000AAD8: E05C1800 80985830
	v_mfma_f32_16x16x32_fp8_fp8 v[208:211], a[26:27], a[138:139], v[208:211]// 00000000AAE0: D3F300D0 1F43151A
	v_mfma_f32_16x16x32_fp8_fp8 v[208:211], a[28:29], a[140:141], v[208:211]// 00000000AAE8: D3F300D0 1F43191C
	v_mfma_f32_16x16x32_fp8_fp8 v[208:211], a[30:31], a[142:143], v[208:211]// 00000000AAF0: D3F300D0 1F431D1E
	v_mfma_f32_16x16x32_fp8_fp8 v[212:215], a[24:25], a[152:153], 0// 00000000AAF8: D3F300D4 1A033118
	v_mfma_f32_16x16x32_fp8_fp8 v[212:215], a[26:27], a[154:155], v[212:215]// 00000000AB00: D3F300D4 1F53351A
	v_mfma_f32_16x16x32_fp8_fp8 v[212:215], a[28:29], a[156:157], v[212:215]// 00000000AB08: D3F300D4 1F53391C
	v_mfma_f32_16x16x32_fp8_fp8 v[212:215], a[30:31], a[158:159], v[212:215]// 00000000AB10: D3F300D4 1F533D1E
	v_mfma_f32_16x16x32_fp8_fp8 v[216:219], a[24:25], a[168:169], 0// 00000000AB18: D3F300D8 1A035118
	buffer_load_dwordx4 a[92:95], v48, s[96:99], 0 offen offset:3072// 00000000AB20: E05C1C00 80985C30
	v_mfma_f32_16x16x32_fp8_fp8 v[216:219], a[26:27], a[170:171], v[216:219]// 00000000AB28: D3F300D8 1F63551A
	v_mfma_f32_16x16x32_fp8_fp8 v[216:219], a[28:29], a[172:173], v[216:219]// 00000000AB30: D3F300D8 1F63591C
	v_mfma_f32_16x16x32_fp8_fp8 v[216:219], a[30:31], a[174:175], v[216:219]// 00000000AB38: D3F300D8 1F635D1E
	v_mfma_f32_16x16x32_fp8_fp8 v[220:223], a[24:25], a[184:185], 0// 00000000AB40: D3F300DC 1A037118
	v_mfma_f32_16x16x32_fp8_fp8 v[220:223], a[26:27], a[186:187], v[220:223]// 00000000AB48: D3F300DC 1F73751A
	v_mfma_f32_16x16x32_fp8_fp8 v[220:223], a[28:29], a[188:189], v[220:223]// 00000000AB50: D3F300DC 1F73791C
	v_mfma_f32_16x16x32_fp8_fp8 v[220:223], a[30:31], a[190:191], v[220:223]// 00000000AB58: D3F300DC 1F737D1E
	s_waitcnt vmcnt(31)                                        // 00000000AB60: BF8C4F7F
	v_mfma_f32_16x16x32_fp8_fp8 v[224:227], a[40:41], a[136:137], 0// 00000000AB64: D3F300E0 1A031128
	buffer_load_dwordx4 a[104:107], v49, s[96:99], 0 offen offset:2048// 00000000AB6C: E05C1800 80986831
	v_mfma_f32_16x16x32_fp8_fp8 v[224:227], a[42:43], a[138:139], v[224:227]// 00000000AB74: D3F300E0 1F83152A
	v_mfma_f32_16x16x32_fp8_fp8 v[224:227], a[44:45], a[140:141], v[224:227]// 00000000AB7C: D3F300E0 1F83192C
	v_mfma_f32_16x16x32_fp8_fp8 v[224:227], a[46:47], a[142:143], v[224:227]// 00000000AB84: D3F300E0 1F831D2E
	v_mfma_f32_16x16x32_fp8_fp8 v[228:231], a[40:41], a[152:153], 0// 00000000AB8C: D3F300E4 1A033128
	v_mfma_f32_16x16x32_fp8_fp8 v[228:231], a[42:43], a[154:155], v[228:231]// 00000000AB94: D3F300E4 1F93352A
	v_mfma_f32_16x16x32_fp8_fp8 v[228:231], a[44:45], a[156:157], v[228:231]// 00000000AB9C: D3F300E4 1F93392C
	v_mfma_f32_16x16x32_fp8_fp8 v[228:231], a[46:47], a[158:159], v[228:231]// 00000000ABA4: D3F300E4 1F933D2E
	v_mfma_f32_16x16x32_fp8_fp8 v[232:235], a[40:41], a[168:169], 0// 00000000ABAC: D3F300E8 1A035128
	buffer_load_dwordx4 a[108:111], v49, s[96:99], 0 offen offset:3072// 00000000ABB4: E05C1C00 80986C31
	v_mfma_f32_16x16x32_fp8_fp8 v[232:235], a[42:43], a[170:171], v[232:235]// 00000000ABBC: D3F300E8 1FA3552A
	v_mfma_f32_16x16x32_fp8_fp8 v[232:235], a[44:45], a[172:173], v[232:235]// 00000000ABC4: D3F300E8 1FA3592C
	v_mfma_f32_16x16x32_fp8_fp8 v[232:235], a[46:47], a[174:175], v[232:235]// 00000000ABCC: D3F300E8 1FA35D2E
	v_mfma_f32_16x16x32_fp8_fp8 v[236:239], a[40:41], a[184:185], 0// 00000000ABD4: D3F300EC 1A037128
	v_mfma_f32_16x16x32_fp8_fp8 v[236:239], a[42:43], a[186:187], v[236:239]// 00000000ABDC: D3F300EC 1FB3752A
	v_mfma_f32_16x16x32_fp8_fp8 v[236:239], a[44:45], a[188:189], v[236:239]// 00000000ABE4: D3F300EC 1FB3792C
	v_mfma_f32_16x16x32_fp8_fp8 v[236:239], a[46:47], a[190:191], v[236:239]// 00000000ABEC: D3F300EC 1FB37D2E
	s_waitcnt vmcnt(31)                                        // 00000000ABF4: BF8C4F7F
	v_mfma_f32_16x16x32_fp8_fp8 v[240:243], a[56:57], a[136:137], 0// 00000000ABF8: D3F300F0 1A031138
	buffer_load_dwordx4 a[120:123], v50, s[96:99], 0 offen offset:2048// 00000000AC00: E05C1800 80987832
	v_mfma_f32_16x16x32_fp8_fp8 v[240:243], a[58:59], a[138:139], v[240:243]// 00000000AC08: D3F300F0 1FC3153A
	v_mfma_f32_16x16x32_fp8_fp8 v[240:243], a[60:61], a[140:141], v[240:243]// 00000000AC10: D3F300F0 1FC3193C
	v_mfma_f32_16x16x32_fp8_fp8 v[240:243], a[62:63], a[142:143], v[240:243]// 00000000AC18: D3F300F0 1FC31D3E
	v_mfma_f32_16x16x32_fp8_fp8 v[244:247], a[56:57], a[152:153], 0// 00000000AC20: D3F300F4 1A033138
	v_mfma_f32_16x16x32_fp8_fp8 v[244:247], a[58:59], a[154:155], v[244:247]// 00000000AC28: D3F300F4 1FD3353A
	v_mfma_f32_16x16x32_fp8_fp8 v[244:247], a[60:61], a[156:157], v[244:247]// 00000000AC30: D3F300F4 1FD3393C
	v_mfma_f32_16x16x32_fp8_fp8 v[244:247], a[62:63], a[158:159], v[244:247]// 00000000AC38: D3F300F4 1FD33D3E
	v_mfma_f32_16x16x32_fp8_fp8 v[248:251], a[56:57], a[168:169], 0// 00000000AC40: D3F300F8 1A035138
	buffer_load_dwordx4 a[124:127], v50, s[96:99], 0 offen offset:3072// 00000000AC48: E05C1C00 80987C32
	v_mfma_f32_16x16x32_fp8_fp8 v[248:251], a[58:59], a[170:171], v[248:251]// 00000000AC50: D3F300F8 1FE3553A
	v_mfma_f32_16x16x32_fp8_fp8 v[248:251], a[60:61], a[172:173], v[248:251]// 00000000AC58: D3F300F8 1FE3593C
	v_mfma_f32_16x16x32_fp8_fp8 v[248:251], a[62:63], a[174:175], v[248:251]// 00000000AC60: D3F300F8 1FE35D3E
	v_mfma_f32_16x16x32_fp8_fp8 v[252:255], a[56:57], a[184:185], 0// 00000000AC68: D3F300FC 1A037138
	v_mfma_f32_16x16x32_fp8_fp8 v[252:255], a[58:59], a[186:187], v[252:255]// 00000000AC70: D3F300FC 1FF3753A
	v_mfma_f32_16x16x32_fp8_fp8 v[252:255], a[60:61], a[188:189], v[252:255]// 00000000AC78: D3F300FC 1FF3793C
	v_mfma_f32_16x16x32_fp8_fp8 v[252:255], a[62:63], a[190:191], v[252:255]// 00000000AC80: D3F300FC 1FF37D3E
	v_mul_f32_dpp v60, v37, v25 row_newbcast:2 row_mask:0xf bank_mask:0xf// 00000000AC88: 0A7832FA FF015225
	v_mov_b32_e32 v61, v60                                     // 00000000AC90: 7E7A033C
	v_pk_fma_f32 v[64:65], v[192:193], v[60:61], v[64:65]      // 00000000AC94: D3B04040 1D0279C0
	v_pk_fma_f32 v[66:67], v[194:195], v[60:61], v[66:67]      // 00000000AC9C: D3B04042 1D0A79C2
	v_pk_fma_f32 v[80:81], v[208:209], v[60:61], v[80:81]      // 00000000ACA4: D3B04050 1D4279D0
	v_pk_fma_f32 v[82:83], v[210:211], v[60:61], v[82:83]      // 00000000ACAC: D3B04052 1D4A79D2
	v_mul_f32_dpp v60, v37, v25 row_newbcast:3 row_mask:0xf bank_mask:0xf// 00000000ACB4: 0A7832FA FF015325
	v_mov_b32_e32 v61, v60                                     // 00000000ACBC: 7E7A033C
	v_pk_fma_f32 v[96:97], v[224:225], v[60:61], v[96:97]      // 00000000ACC0: D3B04060 1D8279E0
	v_pk_fma_f32 v[98:99], v[226:227], v[60:61], v[98:99]      // 00000000ACC8: D3B04062 1D8A79E2
	v_pk_fma_f32 v[112:113], v[240:241], v[60:61], v[112:113]  // 00000000ACD0: D3B04070 1DC279F0
	v_pk_fma_f32 v[114:115], v[242:243], v[60:61], v[114:115]  // 00000000ACD8: D3B04072 1DCA79F2
	v_mul_f32_dpp v60, v37, v26 row_newbcast:2 row_mask:0xf bank_mask:0xf// 00000000ACE0: 0A7834FA FF015225
	v_mov_b32_e32 v61, v60                                     // 00000000ACE8: 7E7A033C
	v_pk_fma_f32 v[68:69], v[196:197], v[60:61], v[68:69]      // 00000000ACEC: D3B04044 1D1279C4
	v_pk_fma_f32 v[70:71], v[198:199], v[60:61], v[70:71]      // 00000000ACF4: D3B04046 1D1A79C6
	v_pk_fma_f32 v[84:85], v[212:213], v[60:61], v[84:85]      // 00000000ACFC: D3B04054 1D5279D4
	v_pk_fma_f32 v[86:87], v[214:215], v[60:61], v[86:87]      // 00000000AD04: D3B04056 1D5A79D6
	v_mul_f32_dpp v60, v37, v26 row_newbcast:3 row_mask:0xf bank_mask:0xf// 00000000AD0C: 0A7834FA FF015325
	v_mov_b32_e32 v61, v60                                     // 00000000AD14: 7E7A033C
	v_pk_fma_f32 v[100:101], v[228:229], v[60:61], v[100:101]  // 00000000AD18: D3B04064 1D9279E4
	v_pk_fma_f32 v[102:103], v[230:231], v[60:61], v[102:103]  // 00000000AD20: D3B04066 1D9A79E6
	v_pk_fma_f32 v[116:117], v[244:245], v[60:61], v[116:117]  // 00000000AD28: D3B04074 1DD279F4
	v_pk_fma_f32 v[118:119], v[246:247], v[60:61], v[118:119]  // 00000000AD30: D3B04076 1DDA79F6
	v_mul_f32_dpp v60, v37, v27 row_newbcast:2 row_mask:0xf bank_mask:0xf// 00000000AD38: 0A7836FA FF015225
	v_mov_b32_e32 v61, v60                                     // 00000000AD40: 7E7A033C
	v_pk_fma_f32 v[72:73], v[200:201], v[60:61], v[72:73]      // 00000000AD44: D3B04048 1D2279C8
	v_pk_fma_f32 v[74:75], v[202:203], v[60:61], v[74:75]      // 00000000AD4C: D3B0404A 1D2A79CA
	v_pk_fma_f32 v[88:89], v[216:217], v[60:61], v[88:89]      // 00000000AD54: D3B04058 1D6279D8
	v_pk_fma_f32 v[90:91], v[218:219], v[60:61], v[90:91]      // 00000000AD5C: D3B0405A 1D6A79DA
	v_mul_f32_dpp v60, v37, v27 row_newbcast:3 row_mask:0xf bank_mask:0xf// 00000000AD64: 0A7836FA FF015325
	v_mov_b32_e32 v61, v60                                     // 00000000AD6C: 7E7A033C
	v_pk_fma_f32 v[104:105], v[232:233], v[60:61], v[104:105]  // 00000000AD70: D3B04068 1DA279E8
	v_pk_fma_f32 v[106:107], v[234:235], v[60:61], v[106:107]  // 00000000AD78: D3B0406A 1DAA79EA
	v_pk_fma_f32 v[120:121], v[248:249], v[60:61], v[120:121]  // 00000000AD80: D3B04078 1DE279F8
	v_pk_fma_f32 v[122:123], v[250:251], v[60:61], v[122:123]  // 00000000AD88: D3B0407A 1DEA79FA
	v_mul_f32_dpp v60, v37, v28 row_newbcast:2 row_mask:0xf bank_mask:0xf// 00000000AD90: 0A7838FA FF015225
	v_mov_b32_e32 v61, v60                                     // 00000000AD98: 7E7A033C
	v_pk_fma_f32 v[76:77], v[204:205], v[60:61], v[76:77]      // 00000000AD9C: D3B0404C 1D3279CC
	v_pk_fma_f32 v[78:79], v[206:207], v[60:61], v[78:79]      // 00000000ADA4: D3B0404E 1D3A79CE
	v_pk_fma_f32 v[92:93], v[220:221], v[60:61], v[92:93]      // 00000000ADAC: D3B0405C 1D7279DC
	v_pk_fma_f32 v[94:95], v[222:223], v[60:61], v[94:95]      // 00000000ADB4: D3B0405E 1D7A79DE
	v_mul_f32_dpp v60, v37, v28 row_newbcast:3 row_mask:0xf bank_mask:0xf// 00000000ADBC: 0A7838FA FF015325
	v_mov_b32_e32 v61, v60                                     // 00000000ADC4: 7E7A033C
	v_pk_fma_f32 v[108:109], v[236:237], v[60:61], v[108:109]  // 00000000ADC8: D3B0406C 1DB279EC
	v_pk_fma_f32 v[110:111], v[238:239], v[60:61], v[110:111]  // 00000000ADD0: D3B0406E 1DBA79EE
	v_pk_fma_f32 v[124:125], v[252:253], v[60:61], v[124:125]  // 00000000ADD8: D3B0407C 1DF279FC
	v_pk_fma_f32 v[126:127], v[254:255], v[60:61], v[126:127]  // 00000000ADE0: D3B0407E 1DFA79FE
	s_add_u32 s56, 0x100, s76                                  // 00000000ADE8: 80384CFF 00000100
	s_cmp_lt_u32 s56, s77                                      // 00000000ADF0: BF0A4D38
	s_cselect_b32 s4, s4, 0                                    // 00000000ADF4: 85048004
	s_add_u32 s32, s4, s32                                     // 00000000ADF8: 80202004
	s_addc_u32 s33, 0, s33                                     // 00000000ADFC: 82212180
	s_waitcnt vmcnt(8)                                         // 00000000AE00: BF8C0F78
	s_barrier                                                  // 00000000AE04: BF8A0000
	v_mfma_f32_16x16x32_fp8_fp8 v[192:195], a[64:65], a[128:129], 0// 00000000AE08: D3F300C0 1A030140
	buffer_load_dwordx4 a[0:3], v47, s[24:27], 0 offen         // 00000000AE10: E05C1000 8086002F
	v_mfma_f32_16x16x32_fp8_fp8 v[192:195], a[66:67], a[130:131], v[192:195]// 00000000AE18: D3F300C0 1F030542
	v_mfma_f32_16x16x32_fp8_fp8 v[192:195], a[68:69], a[132:133], v[192:195]// 00000000AE20: D3F300C0 1F030944
	buffer_load_dword v37, v17, s[32:35], 0 offen              // 00000000AE28: E0501000 80082511
	v_mfma_f32_16x16x32_fp8_fp8 v[192:195], a[70:71], a[134:135], v[192:195]// 00000000AE30: D3F300C0 1F030D46
	v_mfma_f32_16x16x32_fp8_fp8 v[196:199], a[64:65], a[144:145], 0// 00000000AE38: D3F300C4 1A032140
	v_mfma_f32_16x16x32_fp8_fp8 v[196:199], a[66:67], a[146:147], v[196:199]// 00000000AE40: D3F300C4 1F132542
	v_mfma_f32_16x16x32_fp8_fp8 v[196:199], a[68:69], a[148:149], v[196:199]// 00000000AE48: D3F300C4 1F132944
	v_mfma_f32_16x16x32_fp8_fp8 v[196:199], a[70:71], a[150:151], v[196:199]// 00000000AE50: D3F300C4 1F132D46
	v_mfma_f32_16x16x32_fp8_fp8 v[200:203], a[64:65], a[160:161], 0// 00000000AE58: D3F300C8 1A034140
	buffer_load_dwordx4 a[4:7], v47, s[24:27], 0 offen offset:1024// 00000000AE60: E05C1400 8086042F
	v_mfma_f32_16x16x32_fp8_fp8 v[200:203], a[66:67], a[162:163], v[200:203]// 00000000AE68: D3F300C8 1F234542
	v_mfma_f32_16x16x32_fp8_fp8 v[200:203], a[68:69], a[164:165], v[200:203]// 00000000AE70: D3F300C8 1F234944
	v_mfma_f32_16x16x32_fp8_fp8 v[200:203], a[70:71], a[166:167], v[200:203]// 00000000AE78: D3F300C8 1F234D46
	v_mfma_f32_16x16x32_fp8_fp8 v[204:207], a[64:65], a[176:177], 0// 00000000AE80: D3F300CC 1A036140
	v_mfma_f32_16x16x32_fp8_fp8 v[204:207], a[66:67], a[178:179], v[204:207]// 00000000AE88: D3F300CC 1F336542
	v_mfma_f32_16x16x32_fp8_fp8 v[204:207], a[68:69], a[180:181], v[204:207]// 00000000AE90: D3F300CC 1F336944
	v_mfma_f32_16x16x32_fp8_fp8 v[204:207], a[70:71], a[182:183], v[204:207]// 00000000AE98: D3F300CC 1F336D46
	v_mfma_f32_16x16x32_fp8_fp8 v[208:211], a[80:81], a[128:129], 0// 00000000AEA0: D3F300D0 1A030150
	buffer_load_dwordx4 a[16:19], v48, s[24:27], 0 offen       // 00000000AEA8: E05C1000 80861030
	v_mfma_f32_16x16x32_fp8_fp8 v[208:211], a[82:83], a[130:131], v[208:211]// 00000000AEB0: D3F300D0 1F430552
	v_mfma_f32_16x16x32_fp8_fp8 v[208:211], a[84:85], a[132:133], v[208:211]// 00000000AEB8: D3F300D0 1F430954
	v_mfma_f32_16x16x32_fp8_fp8 v[208:211], a[86:87], a[134:135], v[208:211]// 00000000AEC0: D3F300D0 1F430D56
	v_mfma_f32_16x16x32_fp8_fp8 v[212:215], a[80:81], a[144:145], 0// 00000000AEC8: D3F300D4 1A032150
	v_mfma_f32_16x16x32_fp8_fp8 v[212:215], a[82:83], a[146:147], v[212:215]// 00000000AED0: D3F300D4 1F532552
	v_mfma_f32_16x16x32_fp8_fp8 v[212:215], a[84:85], a[148:149], v[212:215]// 00000000AED8: D3F300D4 1F532954
	v_mfma_f32_16x16x32_fp8_fp8 v[212:215], a[86:87], a[150:151], v[212:215]// 00000000AEE0: D3F300D4 1F532D56
	v_mfma_f32_16x16x32_fp8_fp8 v[216:219], a[80:81], a[160:161], 0// 00000000AEE8: D3F300D8 1A034150
	buffer_load_dwordx4 a[20:23], v48, s[24:27], 0 offen offset:1024// 00000000AEF0: E05C1400 80861430
	v_mfma_f32_16x16x32_fp8_fp8 v[216:219], a[82:83], a[162:163], v[216:219]// 00000000AEF8: D3F300D8 1F634552
	v_mfma_f32_16x16x32_fp8_fp8 v[216:219], a[84:85], a[164:165], v[216:219]// 00000000AF00: D3F300D8 1F634954
	v_mfma_f32_16x16x32_fp8_fp8 v[216:219], a[86:87], a[166:167], v[216:219]// 00000000AF08: D3F300D8 1F634D56
	v_mfma_f32_16x16x32_fp8_fp8 v[220:223], a[80:81], a[176:177], 0// 00000000AF10: D3F300DC 1A036150
	v_mfma_f32_16x16x32_fp8_fp8 v[220:223], a[82:83], a[178:179], v[220:223]// 00000000AF18: D3F300DC 1F736552
	v_mfma_f32_16x16x32_fp8_fp8 v[220:223], a[84:85], a[180:181], v[220:223]// 00000000AF20: D3F300DC 1F736954
	v_mfma_f32_16x16x32_fp8_fp8 v[220:223], a[86:87], a[182:183], v[220:223]// 00000000AF28: D3F300DC 1F736D56
	s_waitcnt vmcnt(13)                                        // 00000000AF30: BF8C0F7D
	v_mfma_f32_16x16x32_fp8_fp8 v[224:227], a[96:97], a[128:129], 0// 00000000AF34: D3F300E0 1A030160
	buffer_load_dwordx4 a[32:35], v49, s[24:27], 0 offen       // 00000000AF3C: E05C1000 80862031
	v_mfma_f32_16x16x32_fp8_fp8 v[224:227], a[98:99], a[130:131], v[224:227]// 00000000AF44: D3F300E0 1F830562
	v_mfma_f32_16x16x32_fp8_fp8 v[224:227], a[100:101], a[132:133], v[224:227]// 00000000AF4C: D3F300E0 1F830964
	ds_read_b128 a[192:195], v2 offset:18560                   // 00000000AF54: DBFE4880 C0000002
	ds_read_b128 a[196:199], v2 offset:18624                   // 00000000AF5C: DBFE48C0 C4000002
	ds_read_b32 v29, v3 offset:35072                           // 00000000AF64: D86C8900 1D000003
	ds_read_b32 v30, v3 offset:35328                           // 00000000AF6C: D86C8A00 1E000003
	v_mfma_f32_16x16x32_fp8_fp8 v[224:227], a[102:103], a[134:135], v[224:227]// 00000000AF74: D3F300E0 1F830D66
	v_mfma_f32_16x16x32_fp8_fp8 v[228:231], a[96:97], a[144:145], 0// 00000000AF7C: D3F300E4 1A032160
	v_mfma_f32_16x16x32_fp8_fp8 v[228:231], a[98:99], a[146:147], v[228:231]// 00000000AF84: D3F300E4 1F932562
	v_mfma_f32_16x16x32_fp8_fp8 v[228:231], a[100:101], a[148:149], v[228:231]// 00000000AF8C: D3F300E4 1F932964
	ds_read_b128 a[200:203], v2 offset:18688                   // 00000000AF94: DBFE4900 C8000002
	ds_read_b128 a[204:207], v2 offset:18752                   // 00000000AF9C: DBFE4940 CC000002
	ds_read_b32 v31, v3 offset:36096                           // 00000000AFA4: D86C8D00 1F000003
	ds_read_b32 v32, v3 offset:36352                           // 00000000AFAC: D86C8E00 20000003
	v_mfma_f32_16x16x32_fp8_fp8 v[228:231], a[102:103], a[150:151], v[228:231]// 00000000AFB4: D3F300E4 1F932D66
	v_mfma_f32_16x16x32_fp8_fp8 v[232:235], a[96:97], a[160:161], 0// 00000000AFBC: D3F300E8 1A034160
	buffer_load_dwordx4 a[36:39], v49, s[24:27], 0 offen offset:1024// 00000000AFC4: E05C1400 80862431
	v_mfma_f32_16x16x32_fp8_fp8 v[232:235], a[98:99], a[162:163], v[232:235]// 00000000AFCC: D3F300E8 1FA34562
	v_mfma_f32_16x16x32_fp8_fp8 v[232:235], a[100:101], a[164:165], v[232:235]// 00000000AFD4: D3F300E8 1FA34964
	ds_read_b128 a[208:211], v2 offset:19584                   // 00000000AFDC: DBFE4C80 D0000002
	ds_read_b128 a[212:215], v2 offset:19648                   // 00000000AFE4: DBFE4CC0 D4000002
	ds_read_b32 v33, v3 offset:35584                           // 00000000AFEC: D86C8B00 21000003
	ds_read_b32 v34, v3 offset:35840                           // 00000000AFF4: D86C8C00 22000003
	v_mfma_f32_16x16x32_fp8_fp8 v[232:235], a[102:103], a[166:167], v[232:235]// 00000000AFFC: D3F300E8 1FA34D66
	v_mfma_f32_16x16x32_fp8_fp8 v[236:239], a[96:97], a[176:177], 0// 00000000B004: D3F300EC 1A036160
	v_mfma_f32_16x16x32_fp8_fp8 v[236:239], a[98:99], a[178:179], v[236:239]// 00000000B00C: D3F300EC 1FB36562
	v_mfma_f32_16x16x32_fp8_fp8 v[236:239], a[100:101], a[180:181], v[236:239]// 00000000B014: D3F300EC 1FB36964
	ds_read_b128 a[216:219], v2 offset:19712                   // 00000000B01C: DBFE4D00 D8000002
	ds_read_b128 a[220:223], v2 offset:19776                   // 00000000B024: DBFE4D40 DC000002
	ds_read_b32 v35, v3 offset:36608                           // 00000000B02C: D86C8F00 23000003
	ds_read_b32 v36, v3 offset:36864                           // 00000000B034: D86C9000 24000003
	v_mfma_f32_16x16x32_fp8_fp8 v[236:239], a[102:103], a[182:183], v[236:239]// 00000000B03C: D3F300EC 1FB36D66
	s_waitcnt vmcnt(13)                                        // 00000000B044: BF8C0F7D
	v_mfma_f32_16x16x32_fp8_fp8 v[240:243], a[112:113], a[128:129], 0// 00000000B048: D3F300F0 1A030170
	buffer_load_dwordx4 a[48:51], v50, s[24:27], 0 offen       // 00000000B050: E05C1000 80863032
	v_mfma_f32_16x16x32_fp8_fp8 v[240:243], a[114:115], a[130:131], v[240:243]// 00000000B058: D3F300F0 1FC30572
	v_mfma_f32_16x16x32_fp8_fp8 v[240:243], a[116:117], a[132:133], v[240:243]// 00000000B060: D3F300F0 1FC30974
	ds_read_b128 a[224:227], v2 offset:20608                   // 00000000B068: DBFE5080 E0000002
	ds_read_b128 a[228:231], v2 offset:20672                   // 00000000B070: DBFE50C0 E4000002
	v_mfma_f32_16x16x32_fp8_fp8 v[240:243], a[118:119], a[134:135], v[240:243]// 00000000B078: D3F300F0 1FC30D76
	v_mfma_f32_16x16x32_fp8_fp8 v[244:247], a[112:113], a[144:145], 0// 00000000B080: D3F300F4 1A032170
	v_mfma_f32_16x16x32_fp8_fp8 v[244:247], a[114:115], a[146:147], v[244:247]// 00000000B088: D3F300F4 1FD32572
	v_mfma_f32_16x16x32_fp8_fp8 v[244:247], a[116:117], a[148:149], v[244:247]// 00000000B090: D3F300F4 1FD32974
	ds_read_b128 a[232:235], v2 offset:20736                   // 00000000B098: DBFE5100 E8000002
	ds_read_b128 a[236:239], v2 offset:20800                   // 00000000B0A0: DBFE5140 EC000002
	v_mfma_f32_16x16x32_fp8_fp8 v[244:247], a[118:119], a[150:151], v[244:247]// 00000000B0A8: D3F300F4 1FD32D76
	v_mfma_f32_16x16x32_fp8_fp8 v[248:251], a[112:113], a[160:161], 0// 00000000B0B0: D3F300F8 1A034170
	buffer_load_dwordx4 a[52:55], v50, s[24:27], 0 offen offset:1024// 00000000B0B8: E05C1400 80863432
	v_mfma_f32_16x16x32_fp8_fp8 v[248:251], a[114:115], a[162:163], v[248:251]// 00000000B0C0: D3F300F8 1FE34572
	v_mfma_f32_16x16x32_fp8_fp8 v[248:251], a[116:117], a[164:165], v[248:251]// 00000000B0C8: D3F300F8 1FE34974
	ds_read_b128 a[240:243], v2 offset:21632                   // 00000000B0D0: DBFE5480 F0000002
	ds_read_b128 a[244:247], v2 offset:21696                   // 00000000B0D8: DBFE54C0 F4000002
	v_mfma_f32_16x16x32_fp8_fp8 v[248:251], a[118:119], a[166:167], v[248:251]// 00000000B0E0: D3F300F8 1FE34D76
	v_mfma_f32_16x16x32_fp8_fp8 v[252:255], a[112:113], a[176:177], 0// 00000000B0E8: D3F300FC 1A036170
	v_mfma_f32_16x16x32_fp8_fp8 v[252:255], a[114:115], a[178:179], v[252:255]// 00000000B0F0: D3F300FC 1FF36572
	v_mfma_f32_16x16x32_fp8_fp8 v[252:255], a[116:117], a[180:181], v[252:255]// 00000000B0F8: D3F300FC 1FF36974
	ds_read_b128 a[248:251], v2 offset:21760                   // 00000000B100: DBFE5500 F8000002
	ds_read_b128 a[252:255], v2 offset:21824                   // 00000000B108: DBFE5540 FC000002
	v_mfma_f32_16x16x32_fp8_fp8 v[252:255], a[118:119], a[182:183], v[252:255]// 00000000B110: D3F300FC 1FF36D76
	v_mul_f32_dpp v60, v38, v21 row_newbcast:0 row_mask:0xf bank_mask:0xf// 00000000B118: 0A782AFA FF015026
	v_mov_b32_e32 v61, v60                                     // 00000000B120: 7E7A033C
	v_pk_fma_f32 v[128:129], v[192:193], v[60:61], v[128:129]  // 00000000B124: D3B04080 1E0279C0
	v_pk_fma_f32 v[130:131], v[194:195], v[60:61], v[130:131]  // 00000000B12C: D3B04082 1E0A79C2
	v_pk_fma_f32 v[144:145], v[208:209], v[60:61], v[144:145]  // 00000000B134: D3B04090 1E4279D0
	v_pk_fma_f32 v[146:147], v[210:211], v[60:61], v[146:147]  // 00000000B13C: D3B04092 1E4A79D2
	v_mul_f32_dpp v60, v38, v21 row_newbcast:1 row_mask:0xf bank_mask:0xf// 00000000B144: 0A782AFA FF015126
	v_mov_b32_e32 v61, v60                                     // 00000000B14C: 7E7A033C
	v_pk_fma_f32 v[160:161], v[224:225], v[60:61], v[160:161]  // 00000000B150: D3B040A0 1E8279E0
	v_pk_fma_f32 v[162:163], v[226:227], v[60:61], v[162:163]  // 00000000B158: D3B040A2 1E8A79E2
	v_pk_fma_f32 v[176:177], v[240:241], v[60:61], v[176:177]  // 00000000B160: D3B040B0 1EC279F0
	v_pk_fma_f32 v[178:179], v[242:243], v[60:61], v[178:179]  // 00000000B168: D3B040B2 1ECA79F2
	v_mul_f32_dpp v60, v38, v22 row_newbcast:0 row_mask:0xf bank_mask:0xf// 00000000B170: 0A782CFA FF015026
	v_mov_b32_e32 v61, v60                                     // 00000000B178: 7E7A033C
	v_pk_fma_f32 v[132:133], v[196:197], v[60:61], v[132:133]  // 00000000B17C: D3B04084 1E1279C4
	v_pk_fma_f32 v[134:135], v[198:199], v[60:61], v[134:135]  // 00000000B184: D3B04086 1E1A79C6
	v_pk_fma_f32 v[148:149], v[212:213], v[60:61], v[148:149]  // 00000000B18C: D3B04094 1E5279D4
	v_pk_fma_f32 v[150:151], v[214:215], v[60:61], v[150:151]  // 00000000B194: D3B04096 1E5A79D6
	v_mul_f32_dpp v60, v38, v22 row_newbcast:1 row_mask:0xf bank_mask:0xf// 00000000B19C: 0A782CFA FF015126
	v_mov_b32_e32 v61, v60                                     // 00000000B1A4: 7E7A033C
	v_pk_fma_f32 v[164:165], v[228:229], v[60:61], v[164:165]  // 00000000B1A8: D3B040A4 1E9279E4
	v_pk_fma_f32 v[166:167], v[230:231], v[60:61], v[166:167]  // 00000000B1B0: D3B040A6 1E9A79E6
	v_pk_fma_f32 v[180:181], v[244:245], v[60:61], v[180:181]  // 00000000B1B8: D3B040B4 1ED279F4
	v_pk_fma_f32 v[182:183], v[246:247], v[60:61], v[182:183]  // 00000000B1C0: D3B040B6 1EDA79F6
	v_mul_f32_dpp v60, v38, v23 row_newbcast:0 row_mask:0xf bank_mask:0xf// 00000000B1C8: 0A782EFA FF015026
	v_mov_b32_e32 v61, v60                                     // 00000000B1D0: 7E7A033C
	v_pk_fma_f32 v[136:137], v[200:201], v[60:61], v[136:137]  // 00000000B1D4: D3B04088 1E2279C8
	v_pk_fma_f32 v[138:139], v[202:203], v[60:61], v[138:139]  // 00000000B1DC: D3B0408A 1E2A79CA
	v_pk_fma_f32 v[152:153], v[216:217], v[60:61], v[152:153]  // 00000000B1E4: D3B04098 1E6279D8
	v_pk_fma_f32 v[154:155], v[218:219], v[60:61], v[154:155]  // 00000000B1EC: D3B0409A 1E6A79DA
	v_mul_f32_dpp v60, v38, v23 row_newbcast:1 row_mask:0xf bank_mask:0xf// 00000000B1F4: 0A782EFA FF015126
	v_mov_b32_e32 v61, v60                                     // 00000000B1FC: 7E7A033C
	v_pk_fma_f32 v[168:169], v[232:233], v[60:61], v[168:169]  // 00000000B200: D3B040A8 1EA279E8
	v_pk_fma_f32 v[170:171], v[234:235], v[60:61], v[170:171]  // 00000000B208: D3B040AA 1EAA79EA
	v_pk_fma_f32 v[184:185], v[248:249], v[60:61], v[184:185]  // 00000000B210: D3B040B8 1EE279F8
	v_pk_fma_f32 v[186:187], v[250:251], v[60:61], v[186:187]  // 00000000B218: D3B040BA 1EEA79FA
	v_mul_f32_dpp v60, v38, v24 row_newbcast:0 row_mask:0xf bank_mask:0xf// 00000000B220: 0A7830FA FF015026
	v_mov_b32_e32 v61, v60                                     // 00000000B228: 7E7A033C
	v_pk_fma_f32 v[140:141], v[204:205], v[60:61], v[140:141]  // 00000000B22C: D3B0408C 1E3279CC
	v_pk_fma_f32 v[142:143], v[206:207], v[60:61], v[142:143]  // 00000000B234: D3B0408E 1E3A79CE
	v_pk_fma_f32 v[156:157], v[220:221], v[60:61], v[156:157]  // 00000000B23C: D3B0409C 1E7279DC
	v_pk_fma_f32 v[158:159], v[222:223], v[60:61], v[158:159]  // 00000000B244: D3B0409E 1E7A79DE
	v_mul_f32_dpp v60, v38, v24 row_newbcast:1 row_mask:0xf bank_mask:0xf// 00000000B24C: 0A7830FA FF015126
	v_mov_b32_e32 v61, v60                                     // 00000000B254: 7E7A033C
	v_pk_fma_f32 v[172:173], v[236:237], v[60:61], v[172:173]  // 00000000B258: D3B040AC 1EB279EC
	v_pk_fma_f32 v[174:175], v[238:239], v[60:61], v[174:175]  // 00000000B260: D3B040AE 1EBA79EE
	v_pk_fma_f32 v[188:189], v[252:253], v[60:61], v[188:189]  // 00000000B268: D3B040BC 1EF279FC
	v_pk_fma_f32 v[190:191], v[254:255], v[60:61], v[190:191]  // 00000000B270: D3B040BE 1EFA79FE
	s_waitcnt vmcnt(13)                                        // 00000000B278: BF8C0F7D
	v_mfma_f32_16x16x32_fp8_fp8 v[192:195], a[72:73], a[136:137], 0// 00000000B27C: D3F300C0 1A031148
	buffer_load_dwordx4 a[8:11], v47, s[24:27], 0 offen offset:2048// 00000000B284: E05C1800 8086082F
	v_mfma_f32_16x16x32_fp8_fp8 v[192:195], a[74:75], a[138:139], v[192:195]// 00000000B28C: D3F300C0 1F03154A
	v_mfma_f32_16x16x32_fp8_fp8 v[192:195], a[76:77], a[140:141], v[192:195]// 00000000B294: D3F300C0 1F03194C
	v_mfma_f32_16x16x32_fp8_fp8 v[192:195], a[78:79], a[142:143], v[192:195]// 00000000B29C: D3F300C0 1F031D4E
	v_mfma_f32_16x16x32_fp8_fp8 v[196:199], a[72:73], a[152:153], 0// 00000000B2A4: D3F300C4 1A033148
	v_mfma_f32_16x16x32_fp8_fp8 v[196:199], a[74:75], a[154:155], v[196:199]// 00000000B2AC: D3F300C4 1F13354A
	v_mfma_f32_16x16x32_fp8_fp8 v[196:199], a[76:77], a[156:157], v[196:199]// 00000000B2B4: D3F300C4 1F13394C
	v_mfma_f32_16x16x32_fp8_fp8 v[196:199], a[78:79], a[158:159], v[196:199]// 00000000B2BC: D3F300C4 1F133D4E
	v_mfma_f32_16x16x32_fp8_fp8 v[200:203], a[72:73], a[168:169], 0// 00000000B2C4: D3F300C8 1A035148
	buffer_load_dwordx4 a[12:15], v47, s[24:27], 0 offen offset:3072// 00000000B2CC: E05C1C00 80860C2F
	v_mfma_f32_16x16x32_fp8_fp8 v[200:203], a[74:75], a[170:171], v[200:203]// 00000000B2D4: D3F300C8 1F23554A
	v_mfma_f32_16x16x32_fp8_fp8 v[200:203], a[76:77], a[172:173], v[200:203]// 00000000B2DC: D3F300C8 1F23594C
	v_mfma_f32_16x16x32_fp8_fp8 v[200:203], a[78:79], a[174:175], v[200:203]// 00000000B2E4: D3F300C8 1F235D4E
	v_mfma_f32_16x16x32_fp8_fp8 v[204:207], a[72:73], a[184:185], 0// 00000000B2EC: D3F300CC 1A037148
	v_mfma_f32_16x16x32_fp8_fp8 v[204:207], a[74:75], a[186:187], v[204:207]// 00000000B2F4: D3F300CC 1F33754A
	v_mfma_f32_16x16x32_fp8_fp8 v[204:207], a[76:77], a[188:189], v[204:207]// 00000000B2FC: D3F300CC 1F33794C
	v_mfma_f32_16x16x32_fp8_fp8 v[204:207], a[78:79], a[190:191], v[204:207]// 00000000B304: D3F300CC 1F337D4E
	s_waitcnt vmcnt(13)                                        // 00000000B30C: BF8C0F7D
	v_mfma_f32_16x16x32_fp8_fp8 v[208:211], a[88:89], a[136:137], 0// 00000000B310: D3F300D0 1A031158
	buffer_load_dwordx4 a[24:27], v48, s[24:27], 0 offen offset:2048// 00000000B318: E05C1800 80861830
	v_mfma_f32_16x16x32_fp8_fp8 v[208:211], a[90:91], a[138:139], v[208:211]// 00000000B320: D3F300D0 1F43155A
	v_mfma_f32_16x16x32_fp8_fp8 v[208:211], a[92:93], a[140:141], v[208:211]// 00000000B328: D3F300D0 1F43195C
	v_mfma_f32_16x16x32_fp8_fp8 v[208:211], a[94:95], a[142:143], v[208:211]// 00000000B330: D3F300D0 1F431D5E
	v_mfma_f32_16x16x32_fp8_fp8 v[212:215], a[88:89], a[152:153], 0// 00000000B338: D3F300D4 1A033158
	v_mfma_f32_16x16x32_fp8_fp8 v[212:215], a[90:91], a[154:155], v[212:215]// 00000000B340: D3F300D4 1F53355A
	v_mfma_f32_16x16x32_fp8_fp8 v[212:215], a[92:93], a[156:157], v[212:215]// 00000000B348: D3F300D4 1F53395C
	v_mfma_f32_16x16x32_fp8_fp8 v[212:215], a[94:95], a[158:159], v[212:215]// 00000000B350: D3F300D4 1F533D5E
	v_mfma_f32_16x16x32_fp8_fp8 v[216:219], a[88:89], a[168:169], 0// 00000000B358: D3F300D8 1A035158
	buffer_load_dwordx4 a[28:31], v48, s[24:27], 0 offen offset:3072// 00000000B360: E05C1C00 80861C30
	v_mfma_f32_16x16x32_fp8_fp8 v[216:219], a[90:91], a[170:171], v[216:219]// 00000000B368: D3F300D8 1F63555A
	v_mfma_f32_16x16x32_fp8_fp8 v[216:219], a[92:93], a[172:173], v[216:219]// 00000000B370: D3F300D8 1F63595C
	v_mfma_f32_16x16x32_fp8_fp8 v[216:219], a[94:95], a[174:175], v[216:219]// 00000000B378: D3F300D8 1F635D5E
	v_mfma_f32_16x16x32_fp8_fp8 v[220:223], a[88:89], a[184:185], 0// 00000000B380: D3F300DC 1A037158
	v_mfma_f32_16x16x32_fp8_fp8 v[220:223], a[90:91], a[186:187], v[220:223]// 00000000B388: D3F300DC 1F73755A
	v_mfma_f32_16x16x32_fp8_fp8 v[220:223], a[92:93], a[188:189], v[220:223]// 00000000B390: D3F300DC 1F73795C
	v_mfma_f32_16x16x32_fp8_fp8 v[220:223], a[94:95], a[190:191], v[220:223]// 00000000B398: D3F300DC 1F737D5E
	s_waitcnt vmcnt(13)                                        // 00000000B3A0: BF8C0F7D
	v_mfma_f32_16x16x32_fp8_fp8 v[224:227], a[104:105], a[136:137], 0// 00000000B3A4: D3F300E0 1A031168
	buffer_load_dwordx4 a[40:43], v49, s[24:27], 0 offen offset:2048// 00000000B3AC: E05C1800 80862831
	v_mfma_f32_16x16x32_fp8_fp8 v[224:227], a[106:107], a[138:139], v[224:227]// 00000000B3B4: D3F300E0 1F83156A
	v_mfma_f32_16x16x32_fp8_fp8 v[224:227], a[108:109], a[140:141], v[224:227]// 00000000B3BC: D3F300E0 1F83196C
	v_mfma_f32_16x16x32_fp8_fp8 v[224:227], a[110:111], a[142:143], v[224:227]// 00000000B3C4: D3F300E0 1F831D6E
	v_mfma_f32_16x16x32_fp8_fp8 v[228:231], a[104:105], a[152:153], 0// 00000000B3CC: D3F300E4 1A033168
	v_mfma_f32_16x16x32_fp8_fp8 v[228:231], a[106:107], a[154:155], v[228:231]// 00000000B3D4: D3F300E4 1F93356A
	v_mfma_f32_16x16x32_fp8_fp8 v[228:231], a[108:109], a[156:157], v[228:231]// 00000000B3DC: D3F300E4 1F93396C
	v_mfma_f32_16x16x32_fp8_fp8 v[228:231], a[110:111], a[158:159], v[228:231]// 00000000B3E4: D3F300E4 1F933D6E
	v_mfma_f32_16x16x32_fp8_fp8 v[232:235], a[104:105], a[168:169], 0// 00000000B3EC: D3F300E8 1A035168
	buffer_load_dwordx4 a[44:47], v49, s[24:27], 0 offen offset:3072// 00000000B3F4: E05C1C00 80862C31
	v_mfma_f32_16x16x32_fp8_fp8 v[232:235], a[106:107], a[170:171], v[232:235]// 00000000B3FC: D3F300E8 1FA3556A
	v_mfma_f32_16x16x32_fp8_fp8 v[232:235], a[108:109], a[172:173], v[232:235]// 00000000B404: D3F300E8 1FA3596C
	v_mfma_f32_16x16x32_fp8_fp8 v[232:235], a[110:111], a[174:175], v[232:235]// 00000000B40C: D3F300E8 1FA35D6E
	v_mfma_f32_16x16x32_fp8_fp8 v[236:239], a[104:105], a[184:185], 0// 00000000B414: D3F300EC 1A037168
	v_mfma_f32_16x16x32_fp8_fp8 v[236:239], a[106:107], a[186:187], v[236:239]// 00000000B41C: D3F300EC 1FB3756A
	v_mfma_f32_16x16x32_fp8_fp8 v[236:239], a[108:109], a[188:189], v[236:239]// 00000000B424: D3F300EC 1FB3796C
	v_mfma_f32_16x16x32_fp8_fp8 v[236:239], a[110:111], a[190:191], v[236:239]// 00000000B42C: D3F300EC 1FB37D6E
	s_waitcnt vmcnt(13)                                        // 00000000B434: BF8C0F7D
	v_mfma_f32_16x16x32_fp8_fp8 v[240:243], a[120:121], a[136:137], 0// 00000000B438: D3F300F0 1A031178
	buffer_load_dwordx4 a[56:59], v50, s[24:27], 0 offen offset:2048// 00000000B440: E05C1800 80863832
	v_mfma_f32_16x16x32_fp8_fp8 v[240:243], a[122:123], a[138:139], v[240:243]// 00000000B448: D3F300F0 1FC3157A
	v_mfma_f32_16x16x32_fp8_fp8 v[240:243], a[124:125], a[140:141], v[240:243]// 00000000B450: D3F300F0 1FC3197C
	v_mfma_f32_16x16x32_fp8_fp8 v[240:243], a[126:127], a[142:143], v[240:243]// 00000000B458: D3F300F0 1FC31D7E
	v_mfma_f32_16x16x32_fp8_fp8 v[244:247], a[120:121], a[152:153], 0// 00000000B460: D3F300F4 1A033178
	v_mfma_f32_16x16x32_fp8_fp8 v[244:247], a[122:123], a[154:155], v[244:247]// 00000000B468: D3F300F4 1FD3357A
	v_mfma_f32_16x16x32_fp8_fp8 v[244:247], a[124:125], a[156:157], v[244:247]// 00000000B470: D3F300F4 1FD3397C
	v_mfma_f32_16x16x32_fp8_fp8 v[244:247], a[126:127], a[158:159], v[244:247]// 00000000B478: D3F300F4 1FD33D7E
	v_mfma_f32_16x16x32_fp8_fp8 v[248:251], a[120:121], a[168:169], 0// 00000000B480: D3F300F8 1A035178
	buffer_load_dwordx4 a[60:63], v50, s[24:27], 0 offen offset:3072// 00000000B488: E05C1C00 80863C32
	v_mfma_f32_16x16x32_fp8_fp8 v[248:251], a[122:123], a[170:171], v[248:251]// 00000000B490: D3F300F8 1FE3557A
	v_mfma_f32_16x16x32_fp8_fp8 v[248:251], a[124:125], a[172:173], v[248:251]// 00000000B498: D3F300F8 1FE3597C
	v_mfma_f32_16x16x32_fp8_fp8 v[248:251], a[126:127], a[174:175], v[248:251]// 00000000B4A0: D3F300F8 1FE35D7E
	v_mfma_f32_16x16x32_fp8_fp8 v[252:255], a[120:121], a[184:185], 0// 00000000B4A8: D3F300FC 1A037178
	v_mfma_f32_16x16x32_fp8_fp8 v[252:255], a[122:123], a[186:187], v[252:255]// 00000000B4B0: D3F300FC 1FF3757A
	v_mfma_f32_16x16x32_fp8_fp8 v[252:255], a[124:125], a[188:189], v[252:255]// 00000000B4B8: D3F300FC 1FF3797C
	v_mfma_f32_16x16x32_fp8_fp8 v[252:255], a[126:127], a[190:191], v[252:255]// 00000000B4C0: D3F300FC 1FF37D7E
	v_mul_f32_dpp v60, v38, v25 row_newbcast:2 row_mask:0xf bank_mask:0xf// 00000000B4C8: 0A7832FA FF015226
	v_mov_b32_e32 v61, v60                                     // 00000000B4D0: 7E7A033C
	v_pk_fma_f32 v[128:129], v[192:193], v[60:61], v[128:129]  // 00000000B4D4: D3B04080 1E0279C0
	v_pk_fma_f32 v[130:131], v[194:195], v[60:61], v[130:131]  // 00000000B4DC: D3B04082 1E0A79C2
	v_pk_fma_f32 v[144:145], v[208:209], v[60:61], v[144:145]  // 00000000B4E4: D3B04090 1E4279D0
	v_pk_fma_f32 v[146:147], v[210:211], v[60:61], v[146:147]  // 00000000B4EC: D3B04092 1E4A79D2
	v_mul_f32_dpp v60, v38, v25 row_newbcast:3 row_mask:0xf bank_mask:0xf// 00000000B4F4: 0A7832FA FF015326
	v_mov_b32_e32 v61, v60                                     // 00000000B4FC: 7E7A033C
	v_pk_fma_f32 v[160:161], v[224:225], v[60:61], v[160:161]  // 00000000B500: D3B040A0 1E8279E0
	v_pk_fma_f32 v[162:163], v[226:227], v[60:61], v[162:163]  // 00000000B508: D3B040A2 1E8A79E2
	v_pk_fma_f32 v[176:177], v[240:241], v[60:61], v[176:177]  // 00000000B510: D3B040B0 1EC279F0
	v_pk_fma_f32 v[178:179], v[242:243], v[60:61], v[178:179]  // 00000000B518: D3B040B2 1ECA79F2
	v_mul_f32_dpp v60, v38, v26 row_newbcast:2 row_mask:0xf bank_mask:0xf// 00000000B520: 0A7834FA FF015226
	v_mov_b32_e32 v61, v60                                     // 00000000B528: 7E7A033C
	v_pk_fma_f32 v[132:133], v[196:197], v[60:61], v[132:133]  // 00000000B52C: D3B04084 1E1279C4
	v_pk_fma_f32 v[134:135], v[198:199], v[60:61], v[134:135]  // 00000000B534: D3B04086 1E1A79C6
	v_pk_fma_f32 v[148:149], v[212:213], v[60:61], v[148:149]  // 00000000B53C: D3B04094 1E5279D4
	v_pk_fma_f32 v[150:151], v[214:215], v[60:61], v[150:151]  // 00000000B544: D3B04096 1E5A79D6
	v_mul_f32_dpp v60, v38, v26 row_newbcast:3 row_mask:0xf bank_mask:0xf// 00000000B54C: 0A7834FA FF015326
	v_mov_b32_e32 v61, v60                                     // 00000000B554: 7E7A033C
	v_pk_fma_f32 v[164:165], v[228:229], v[60:61], v[164:165]  // 00000000B558: D3B040A4 1E9279E4
	v_pk_fma_f32 v[166:167], v[230:231], v[60:61], v[166:167]  // 00000000B560: D3B040A6 1E9A79E6
	v_pk_fma_f32 v[180:181], v[244:245], v[60:61], v[180:181]  // 00000000B568: D3B040B4 1ED279F4
	v_pk_fma_f32 v[182:183], v[246:247], v[60:61], v[182:183]  // 00000000B570: D3B040B6 1EDA79F6
	v_mul_f32_dpp v60, v38, v27 row_newbcast:2 row_mask:0xf bank_mask:0xf// 00000000B578: 0A7836FA FF015226
	v_mov_b32_e32 v61, v60                                     // 00000000B580: 7E7A033C
	v_pk_fma_f32 v[136:137], v[200:201], v[60:61], v[136:137]  // 00000000B584: D3B04088 1E2279C8
	v_pk_fma_f32 v[138:139], v[202:203], v[60:61], v[138:139]  // 00000000B58C: D3B0408A 1E2A79CA
	v_pk_fma_f32 v[152:153], v[216:217], v[60:61], v[152:153]  // 00000000B594: D3B04098 1E6279D8
	v_pk_fma_f32 v[154:155], v[218:219], v[60:61], v[154:155]  // 00000000B59C: D3B0409A 1E6A79DA
	v_mul_f32_dpp v60, v38, v27 row_newbcast:3 row_mask:0xf bank_mask:0xf// 00000000B5A4: 0A7836FA FF015326
	v_mov_b32_e32 v61, v60                                     // 00000000B5AC: 7E7A033C
	v_pk_fma_f32 v[168:169], v[232:233], v[60:61], v[168:169]  // 00000000B5B0: D3B040A8 1EA279E8
	v_pk_fma_f32 v[170:171], v[234:235], v[60:61], v[170:171]  // 00000000B5B8: D3B040AA 1EAA79EA
	v_pk_fma_f32 v[184:185], v[248:249], v[60:61], v[184:185]  // 00000000B5C0: D3B040B8 1EE279F8
	v_pk_fma_f32 v[186:187], v[250:251], v[60:61], v[186:187]  // 00000000B5C8: D3B040BA 1EEA79FA
	v_mul_f32_dpp v60, v38, v28 row_newbcast:2 row_mask:0xf bank_mask:0xf// 00000000B5D0: 0A7838FA FF015226
	v_mov_b32_e32 v61, v60                                     // 00000000B5D8: 7E7A033C
	v_pk_fma_f32 v[140:141], v[204:205], v[60:61], v[140:141]  // 00000000B5DC: D3B0408C 1E3279CC
	v_pk_fma_f32 v[142:143], v[206:207], v[60:61], v[142:143]  // 00000000B5E4: D3B0408E 1E3A79CE
	v_pk_fma_f32 v[156:157], v[220:221], v[60:61], v[156:157]  // 00000000B5EC: D3B0409C 1E7279DC
	v_pk_fma_f32 v[158:159], v[222:223], v[60:61], v[158:159]  // 00000000B5F4: D3B0409E 1E7A79DE
	v_mul_f32_dpp v60, v38, v28 row_newbcast:3 row_mask:0xf bank_mask:0xf// 00000000B5FC: 0A7838FA FF015326
	v_mov_b32_e32 v61, v60                                     // 00000000B604: 7E7A033C
	v_pk_fma_f32 v[172:173], v[236:237], v[60:61], v[172:173]  // 00000000B608: D3B040AC 1EB279EC
	v_pk_fma_f32 v[174:175], v[238:239], v[60:61], v[174:175]  // 00000000B610: D3B040AE 1EBA79EE
	v_pk_fma_f32 v[188:189], v[252:253], v[60:61], v[188:189]  // 00000000B618: D3B040BC 1EF279FC
	v_pk_fma_f32 v[190:191], v[254:255], v[60:61], v[190:191]  // 00000000B620: D3B040BE 1EFA79FE
	s_add_u32 s56, 0x200, s76                                  // 00000000B628: 80384CFF 00000200
	s_cmp_lt_u32 s56, s77                                      // 00000000B630: BF0A4D38
	s_cselect_b32 s53, s53, 0                                  // 00000000B634: 85358035
	s_cselect_b32 s3, s3, 0                                    // 00000000B638: 85038003
	s_add_u32 s56, 0x200, s76                                  // 00000000B63C: 80384CFF 00000200
	s_cmp_lt_u32 s56, s77                                      // 00000000B644: BF0A4D38
	s_cselect_b32 s54, s54, 0                                  // 00000000B648: 85368036
	s_add_u32 s20, s53, s20                                    // 00000000B64C: 80141435
	s_addc_u32 s21, 0, s21                                     // 00000000B650: 82151580
	s_add_u32 s28, s3, s28                                     // 00000000B654: 801C1C03
	s_addc_u32 s29, 0, s29                                     // 00000000B658: 821D1D80
	s_add_u32 s24, s54, s24                                    // 00000000B65C: 80181836
	s_addc_u32 s25, 0, s25                                     // 00000000B660: 82191980
	s_add_u32 s96, s94, s96                                    // 00000000B664: 8060605E
	s_addc_u32 s97, 0, s97                                     // 00000000B668: 82616180
	s_addk_i32 s76, 0x100                                      // 00000000B66C: B74C0100
	s_cmp_lt_i32 s76, s77                                      // 00000000B670: BF044D4C
	s_cbranch_scc0 label_2693                                  // 00000000B674: BF840475
	s_waitcnt vmcnt(8) lgkmcnt(0)                              // 00000000B678: BF8C0078
	s_barrier                                                  // 00000000B67C: BF8A0000
	v_mfma_f32_16x16x32_fp8_fp8 v[192:195], a[0:1], a[192:193], 0// 00000000B680: D3F300C0 1A038100
	buffer_load_dwordx4 a[64:67], v47, s[96:99], 0 offen       // 00000000B688: E05C1000 8098402F
	v_mfma_f32_16x16x32_fp8_fp8 v[192:195], a[2:3], a[194:195], v[192:195]// 00000000B690: D3F300C0 1F038502
	v_mfma_f32_16x16x32_fp8_fp8 v[192:195], a[4:5], a[196:197], v[192:195]// 00000000B698: D3F300C0 1F038904
	buffer_load_dword v43, s[20:23], 0 offen lds               // 00000000B6A0: E0511000 8005002B
	s_mul_i32 s56, s80, s64                                    // 00000000B6A8: 92384050
	v_lshl_add_u32 v45, v0, 2, s56                             // 00000000B6AC: D1FD002D 00E10500
	s_add_u32 m0, 0x100, s48                                   // 00000000B6B4: 807C30FF 00000100
	v_mfma_f32_16x16x32_fp8_fp8 v[192:195], a[6:7], a[198:199], v[192:195]// 00000000B6BC: D3F300C0 1F038D06
	v_mfma_f32_16x16x32_fp8_fp8 v[196:199], a[0:1], a[208:209], 0// 00000000B6C4: D3F300C4 1A03A100
	v_mfma_f32_16x16x32_fp8_fp8 v[196:199], a[2:3], a[210:211], v[196:199]// 00000000B6CC: D3F300C4 1F13A502
	v_mfma_f32_16x16x32_fp8_fp8 v[196:199], a[4:5], a[212:213], v[196:199]// 00000000B6D4: D3F300C4 1F13A904
	buffer_load_dword v44, s[20:23], 0 offen lds               // 00000000B6DC: E0511000 8005002C
	s_mul_i32 s56, s81, s64                                    // 00000000B6E4: 92384051
	v_lshl_add_u32 v46, v0, 2, s56                             // 00000000B6E8: D1FD002E 00E10500
	s_add_u32 m0, 0x200, s48                                   // 00000000B6F0: 807C30FF 00000200
	v_mfma_f32_16x16x32_fp8_fp8 v[196:199], a[6:7], a[214:215], v[196:199]// 00000000B6F8: D3F300C4 1F13AD06
	v_mfma_f32_16x16x32_fp8_fp8 v[200:203], a[0:1], a[224:225], 0// 00000000B700: D3F300C8 1A03C100
	buffer_load_dwordx4 a[68:71], v47, s[96:99], 0 offen offset:1024// 00000000B708: E05C1400 8098442F
	v_mfma_f32_16x16x32_fp8_fp8 v[200:203], a[2:3], a[226:227], v[200:203]// 00000000B710: D3F300C8 1F23C502
	v_mfma_f32_16x16x32_fp8_fp8 v[200:203], a[4:5], a[228:229], v[200:203]// 00000000B718: D3F300C8 1F23C904
	buffer_load_dword v45, s[20:23], 0 offen lds               // 00000000B720: E0511000 8005002D
	s_mul_i32 s56, s82, s64                                    // 00000000B728: 92384052
	v_lshl_add_u32 v43, v0, 2, s56                             // 00000000B72C: D1FD002B 00E10500
	s_add_u32 m0, 0x300, s48                                   // 00000000B734: 807C30FF 00000300
	v_mfma_f32_16x16x32_fp8_fp8 v[200:203], a[6:7], a[230:231], v[200:203]// 00000000B73C: D3F300C8 1F23CD06
	v_mfma_f32_16x16x32_fp8_fp8 v[204:207], a[0:1], a[240:241], 0// 00000000B744: D3F300CC 1A03E100
	v_mfma_f32_16x16x32_fp8_fp8 v[204:207], a[2:3], a[242:243], v[204:207]// 00000000B74C: D3F300CC 1F33E502
	v_mfma_f32_16x16x32_fp8_fp8 v[204:207], a[4:5], a[244:245], v[204:207]// 00000000B754: D3F300CC 1F33E904
	buffer_load_dword v46, s[20:23], 0 offen lds               // 00000000B75C: E0511000 8005002E
	s_mul_i32 s56, s83, s64                                    // 00000000B764: 92384053
	v_lshl_add_u32 v44, v0, 2, s56                             // 00000000B768: D1FD002C 00E10500
	s_add_u32 m0, 0x400, s48                                   // 00000000B770: 807C30FF 00000400
	v_mfma_f32_16x16x32_fp8_fp8 v[204:207], a[6:7], a[246:247], v[204:207]// 00000000B778: D3F300CC 1F33ED06
	v_mfma_f32_16x16x32_fp8_fp8 v[208:211], a[16:17], a[192:193], 0// 00000000B780: D3F300D0 1A038110
	buffer_load_dwordx4 a[80:83], v48, s[96:99], 0 offen       // 00000000B788: E05C1000 80985030
	v_mfma_f32_16x16x32_fp8_fp8 v[208:211], a[18:19], a[194:195], v[208:211]// 00000000B790: D3F300D0 1F438512
	v_mfma_f32_16x16x32_fp8_fp8 v[208:211], a[20:21], a[196:197], v[208:211]// 00000000B798: D3F300D0 1F438914
	buffer_load_dword v43, s[20:23], 0 offen lds               // 00000000B7A0: E0511000 8005002B
	s_mul_i32 s56, s84, s64                                    // 00000000B7A8: 92384054
	v_lshl_add_u32 v45, v0, 2, s56                             // 00000000B7AC: D1FD002D 00E10500
	s_add_u32 m0, 0x500, s48                                   // 00000000B7B4: 807C30FF 00000500
	v_mfma_f32_16x16x32_fp8_fp8 v[208:211], a[22:23], a[198:199], v[208:211]// 00000000B7BC: D3F300D0 1F438D16
	v_mfma_f32_16x16x32_fp8_fp8 v[212:215], a[16:17], a[208:209], 0// 00000000B7C4: D3F300D4 1A03A110
	v_mfma_f32_16x16x32_fp8_fp8 v[212:215], a[18:19], a[210:211], v[212:215]// 00000000B7CC: D3F300D4 1F53A512
	v_mfma_f32_16x16x32_fp8_fp8 v[212:215], a[20:21], a[212:213], v[212:215]// 00000000B7D4: D3F300D4 1F53A914
	buffer_load_dword v44, s[20:23], 0 offen lds               // 00000000B7DC: E0511000 8005002C
	s_mul_i32 s56, s85, s64                                    // 00000000B7E4: 92384055
	v_lshl_add_u32 v46, v0, 2, s56                             // 00000000B7E8: D1FD002E 00E10500
	s_add_u32 m0, 0x600, s48                                   // 00000000B7F0: 807C30FF 00000600
	v_mfma_f32_16x16x32_fp8_fp8 v[212:215], a[22:23], a[214:215], v[212:215]// 00000000B7F8: D3F300D4 1F53AD16
	v_mfma_f32_16x16x32_fp8_fp8 v[216:219], a[16:17], a[224:225], 0// 00000000B800: D3F300D8 1A03C110
	buffer_load_dwordx4 a[84:87], v48, s[96:99], 0 offen offset:1024// 00000000B808: E05C1400 80985430
	v_mfma_f32_16x16x32_fp8_fp8 v[216:219], a[18:19], a[226:227], v[216:219]// 00000000B810: D3F300D8 1F63C512
	v_mfma_f32_16x16x32_fp8_fp8 v[216:219], a[20:21], a[228:229], v[216:219]// 00000000B818: D3F300D8 1F63C914
	buffer_load_dword v45, s[20:23], 0 offen lds               // 00000000B820: E0511000 8005002D
	s_mul_i32 s56, s86, s64                                    // 00000000B828: 92384056
	v_lshl_add_u32 v43, v0, 2, s56                             // 00000000B82C: D1FD002B 00E10500
	s_add_u32 m0, 0x700, s48                                   // 00000000B834: 807C30FF 00000700
	v_mfma_f32_16x16x32_fp8_fp8 v[216:219], a[22:23], a[230:231], v[216:219]// 00000000B83C: D3F300D8 1F63CD16
	v_mfma_f32_16x16x32_fp8_fp8 v[220:223], a[16:17], a[240:241], 0// 00000000B844: D3F300DC 1A03E110
	v_mfma_f32_16x16x32_fp8_fp8 v[220:223], a[18:19], a[242:243], v[220:223]// 00000000B84C: D3F300DC 1F73E512
	v_mfma_f32_16x16x32_fp8_fp8 v[220:223], a[20:21], a[244:245], v[220:223]// 00000000B854: D3F300DC 1F73E914
	buffer_load_dword v46, s[20:23], 0 offen lds               // 00000000B85C: E0511000 8005002E
	s_mul_i32 s56, s87, s64                                    // 00000000B864: 92384057
	v_lshl_add_u32 v44, v0, 2, s56                             // 00000000B868: D1FD002C 00E10500
	s_add_u32 m0, 0x800, s48                                   // 00000000B870: 807C30FF 00000800
	v_mfma_f32_16x16x32_fp8_fp8 v[220:223], a[22:23], a[246:247], v[220:223]// 00000000B878: D3F300DC 1F73ED16
	s_waitcnt vmcnt(31)                                        // 00000000B880: BF8C4F7F
	v_mfma_f32_16x16x32_fp8_fp8 v[224:227], a[32:33], a[192:193], 0// 00000000B884: D3F300E0 1A038120
	buffer_load_dwordx4 a[96:99], v49, s[96:99], 0 offen       // 00000000B88C: E05C1000 80986031
	v_mfma_f32_16x16x32_fp8_fp8 v[224:227], a[34:35], a[194:195], v[224:227]// 00000000B894: D3F300E0 1F838522
	v_mfma_f32_16x16x32_fp8_fp8 v[224:227], a[36:37], a[196:197], v[224:227]// 00000000B89C: D3F300E0 1F838924
	buffer_load_dword v43, s[20:23], 0 offen lds               // 00000000B8A4: E0511000 8005002B
	s_mul_i32 s56, s88, s64                                    // 00000000B8AC: 92384058
	v_lshl_add_u32 v45, v0, 2, s56                             // 00000000B8B0: D1FD002D 00E10500
	s_add_u32 m0, 0x900, s48                                   // 00000000B8B8: 807C30FF 00000900
	v_mfma_f32_16x16x32_fp8_fp8 v[224:227], a[38:39], a[198:199], v[224:227]// 00000000B8C0: D3F300E0 1F838D26
	v_mfma_f32_16x16x32_fp8_fp8 v[228:231], a[32:33], a[208:209], 0// 00000000B8C8: D3F300E4 1A03A120
	v_mfma_f32_16x16x32_fp8_fp8 v[228:231], a[34:35], a[210:211], v[228:231]// 00000000B8D0: D3F300E4 1F93A522
	v_mfma_f32_16x16x32_fp8_fp8 v[228:231], a[36:37], a[212:213], v[228:231]// 00000000B8D8: D3F300E4 1F93A924
	buffer_load_dword v44, s[20:23], 0 offen lds               // 00000000B8E0: E0511000 8005002C
	s_mul_i32 s56, s89, s64                                    // 00000000B8E8: 92384059
	v_lshl_add_u32 v46, v0, 2, s56                             // 00000000B8EC: D1FD002E 00E10500
	s_add_u32 m0, 0xa00, s48                                   // 00000000B8F4: 807C30FF 00000A00
	v_mfma_f32_16x16x32_fp8_fp8 v[228:231], a[38:39], a[214:215], v[228:231]// 00000000B8FC: D3F300E4 1F93AD26
	v_mfma_f32_16x16x32_fp8_fp8 v[232:235], a[32:33], a[224:225], 0// 00000000B904: D3F300E8 1A03C120
	buffer_load_dwordx4 a[100:103], v49, s[96:99], 0 offen offset:1024// 00000000B90C: E05C1400 80986431
	v_mfma_f32_16x16x32_fp8_fp8 v[232:235], a[34:35], a[226:227], v[232:235]// 00000000B914: D3F300E8 1FA3C522
	v_mfma_f32_16x16x32_fp8_fp8 v[232:235], a[36:37], a[228:229], v[232:235]// 00000000B91C: D3F300E8 1FA3C924
	buffer_load_dword v45, s[20:23], 0 offen lds               // 00000000B924: E0511000 8005002D
	s_mul_i32 s56, s90, s64                                    // 00000000B92C: 9238405A
	v_lshl_add_u32 v43, v0, 2, s56                             // 00000000B930: D1FD002B 00E10500
	s_add_u32 m0, 0xb00, s48                                   // 00000000B938: 807C30FF 00000B00
	v_mfma_f32_16x16x32_fp8_fp8 v[232:235], a[38:39], a[230:231], v[232:235]// 00000000B940: D3F300E8 1FA3CD26
	v_mfma_f32_16x16x32_fp8_fp8 v[236:239], a[32:33], a[240:241], 0// 00000000B948: D3F300EC 1A03E120
	v_mfma_f32_16x16x32_fp8_fp8 v[236:239], a[34:35], a[242:243], v[236:239]// 00000000B950: D3F300EC 1FB3E522
	v_mfma_f32_16x16x32_fp8_fp8 v[236:239], a[36:37], a[244:245], v[236:239]// 00000000B958: D3F300EC 1FB3E924
	buffer_load_dword v46, s[20:23], 0 offen lds               // 00000000B960: E0511000 8005002E
	s_mul_i32 s56, s91, s64                                    // 00000000B968: 9238405B
	v_lshl_add_u32 v44, v0, 2, s56                             // 00000000B96C: D1FD002C 00E10500
	s_add_u32 m0, 0xc00, s48                                   // 00000000B974: 807C30FF 00000C00
	v_mfma_f32_16x16x32_fp8_fp8 v[236:239], a[38:39], a[246:247], v[236:239]// 00000000B97C: D3F300EC 1FB3ED26
	s_waitcnt vmcnt(31)                                        // 00000000B984: BF8C4F7F
	v_mfma_f32_16x16x32_fp8_fp8 v[240:243], a[48:49], a[192:193], 0// 00000000B988: D3F300F0 1A038130
	buffer_load_dwordx4 a[112:115], v50, s[96:99], 0 offen     // 00000000B990: E05C1000 80987032
	v_mfma_f32_16x16x32_fp8_fp8 v[240:243], a[50:51], a[194:195], v[240:243]// 00000000B998: D3F300F0 1FC38532
	v_mfma_f32_16x16x32_fp8_fp8 v[240:243], a[52:53], a[196:197], v[240:243]// 00000000B9A0: D3F300F0 1FC38934
	buffer_load_dword v43, s[20:23], 0 offen lds               // 00000000B9A8: E0511000 8005002B
	s_mul_i32 s56, s92, s64                                    // 00000000B9B0: 9238405C
	v_lshl_add_u32 v45, v0, 2, s56                             // 00000000B9B4: D1FD002D 00E10500
	s_add_u32 m0, 0xd00, s48                                   // 00000000B9BC: 807C30FF 00000D00
	v_mfma_f32_16x16x32_fp8_fp8 v[240:243], a[54:55], a[198:199], v[240:243]// 00000000B9C4: D3F300F0 1FC38D36
	v_mfma_f32_16x16x32_fp8_fp8 v[244:247], a[48:49], a[208:209], 0// 00000000B9CC: D3F300F4 1A03A130
	v_mfma_f32_16x16x32_fp8_fp8 v[244:247], a[50:51], a[210:211], v[244:247]// 00000000B9D4: D3F300F4 1FD3A532
	v_mfma_f32_16x16x32_fp8_fp8 v[244:247], a[52:53], a[212:213], v[244:247]// 00000000B9DC: D3F300F4 1FD3A934
	buffer_load_dword v44, s[20:23], 0 offen lds               // 00000000B9E4: E0511000 8005002C
	s_mul_i32 s56, s93, s64                                    // 00000000B9EC: 9238405D
	v_lshl_add_u32 v46, v0, 2, s56                             // 00000000B9F0: D1FD002E 00E10500
	s_add_u32 m0, 0xe00, s48                                   // 00000000B9F8: 807C30FF 00000E00
	v_mfma_f32_16x16x32_fp8_fp8 v[244:247], a[54:55], a[214:215], v[244:247]// 00000000BA00: D3F300F4 1FD3AD36
	v_mfma_f32_16x16x32_fp8_fp8 v[248:251], a[48:49], a[224:225], 0// 00000000BA08: D3F300F8 1A03C130
	buffer_load_dwordx4 a[116:119], v50, s[96:99], 0 offen offset:1024// 00000000BA10: E05C1400 80987432
	v_mfma_f32_16x16x32_fp8_fp8 v[248:251], a[50:51], a[226:227], v[248:251]// 00000000BA18: D3F300F8 1FE3C532
	v_mfma_f32_16x16x32_fp8_fp8 v[248:251], a[52:53], a[228:229], v[248:251]// 00000000BA20: D3F300F8 1FE3C934
	buffer_load_dword v45, s[20:23], 0 offen lds               // 00000000BA28: E0511000 8005002D
	s_mul_i32 s56, s78, s64                                    // 00000000BA30: 9238404E
	v_lshl_add_u32 v43, v0, 2, s56                             // 00000000BA34: D1FD002B 00E10500
	s_add_u32 m0, 0xf00, s48                                   // 00000000BA3C: 807C30FF 00000F00
	v_mfma_f32_16x16x32_fp8_fp8 v[248:251], a[54:55], a[230:231], v[248:251]// 00000000BA44: D3F300F8 1FE3CD36
	v_mfma_f32_16x16x32_fp8_fp8 v[252:255], a[48:49], a[240:241], 0// 00000000BA4C: D3F300FC 1A03E130
	v_mfma_f32_16x16x32_fp8_fp8 v[252:255], a[50:51], a[242:243], v[252:255]// 00000000BA54: D3F300FC 1FF3E532
	v_mfma_f32_16x16x32_fp8_fp8 v[252:255], a[52:53], a[244:245], v[252:255]// 00000000BA5C: D3F300FC 1FF3E934
	buffer_load_dword v46, s[20:23], 0 offen lds               // 00000000BA64: E0511000 8005002E
	s_mul_i32 s56, s79, s64                                    // 00000000BA6C: 9238404F
	v_lshl_add_u32 v44, v0, 2, s56                             // 00000000BA70: D1FD002C 00E10500
	s_add_u32 m0, s48, s72                                     // 00000000BA78: 807C4830
	buffer_load_dword v9, s[28:31], 0 offen lds                // 00000000BA7C: E0511000 80070009
	s_add_u32 m0, m0, 0x400                                    // 00000000BA84: 807CFF7C 00000400
	buffer_load_dword v11, s[28:31], 0 offen lds               // 00000000BA8C: E0511000 8007000B
	s_add_u32 m0, 0, s49                                       // 00000000BA94: 807C3180
	buffer_load_dword v38, v19, s[32:35], 0 offen              // 00000000BA98: E0501000 80082613
	v_mfma_f32_16x16x32_fp8_fp8 v[252:255], a[54:55], a[246:247], v[252:255]// 00000000BAA0: D3F300FC 1FF3ED36
	v_mul_f32_dpp v60, v37, v29 row_newbcast:0 row_mask:0xf bank_mask:0xf// 00000000BAA8: 0A783AFA FF015025
	v_mov_b32_e32 v61, v60                                     // 00000000BAB0: 7E7A033C
	v_pk_fma_f32 v[64:65], v[192:193], v[60:61], v[64:65]      // 00000000BAB4: D3B04040 1D0279C0
	v_pk_fma_f32 v[66:67], v[194:195], v[60:61], v[66:67]      // 00000000BABC: D3B04042 1D0A79C2
	v_pk_fma_f32 v[80:81], v[208:209], v[60:61], v[80:81]      // 00000000BAC4: D3B04050 1D4279D0
	v_pk_fma_f32 v[82:83], v[210:211], v[60:61], v[82:83]      // 00000000BACC: D3B04052 1D4A79D2
	v_mul_f32_dpp v60, v37, v29 row_newbcast:1 row_mask:0xf bank_mask:0xf// 00000000BAD4: 0A783AFA FF015125
	v_mov_b32_e32 v61, v60                                     // 00000000BADC: 7E7A033C
	v_pk_fma_f32 v[96:97], v[224:225], v[60:61], v[96:97]      // 00000000BAE0: D3B04060 1D8279E0
	v_pk_fma_f32 v[98:99], v[226:227], v[60:61], v[98:99]      // 00000000BAE8: D3B04062 1D8A79E2
	v_pk_fma_f32 v[112:113], v[240:241], v[60:61], v[112:113]  // 00000000BAF0: D3B04070 1DC279F0
	v_pk_fma_f32 v[114:115], v[242:243], v[60:61], v[114:115]  // 00000000BAF8: D3B04072 1DCA79F2
	v_mul_f32_dpp v60, v37, v30 row_newbcast:0 row_mask:0xf bank_mask:0xf// 00000000BB00: 0A783CFA FF015025
	v_mov_b32_e32 v61, v60                                     // 00000000BB08: 7E7A033C
	v_pk_fma_f32 v[68:69], v[196:197], v[60:61], v[68:69]      // 00000000BB0C: D3B04044 1D1279C4
	v_pk_fma_f32 v[70:71], v[198:199], v[60:61], v[70:71]      // 00000000BB14: D3B04046 1D1A79C6
	v_pk_fma_f32 v[84:85], v[212:213], v[60:61], v[84:85]      // 00000000BB1C: D3B04054 1D5279D4
	v_pk_fma_f32 v[86:87], v[214:215], v[60:61], v[86:87]      // 00000000BB24: D3B04056 1D5A79D6
	v_mul_f32_dpp v60, v37, v30 row_newbcast:1 row_mask:0xf bank_mask:0xf// 00000000BB2C: 0A783CFA FF015125
	v_mov_b32_e32 v61, v60                                     // 00000000BB34: 7E7A033C
	v_pk_fma_f32 v[100:101], v[228:229], v[60:61], v[100:101]  // 00000000BB38: D3B04064 1D9279E4
	v_pk_fma_f32 v[102:103], v[230:231], v[60:61], v[102:103]  // 00000000BB40: D3B04066 1D9A79E6
	v_pk_fma_f32 v[116:117], v[244:245], v[60:61], v[116:117]  // 00000000BB48: D3B04074 1DD279F4
	v_pk_fma_f32 v[118:119], v[246:247], v[60:61], v[118:119]  // 00000000BB50: D3B04076 1DDA79F6
	v_mul_f32_dpp v60, v37, v31 row_newbcast:0 row_mask:0xf bank_mask:0xf// 00000000BB58: 0A783EFA FF015025
	v_mov_b32_e32 v61, v60                                     // 00000000BB60: 7E7A033C
	v_pk_fma_f32 v[72:73], v[200:201], v[60:61], v[72:73]      // 00000000BB64: D3B04048 1D2279C8
	v_pk_fma_f32 v[74:75], v[202:203], v[60:61], v[74:75]      // 00000000BB6C: D3B0404A 1D2A79CA
	v_pk_fma_f32 v[88:89], v[216:217], v[60:61], v[88:89]      // 00000000BB74: D3B04058 1D6279D8
	v_pk_fma_f32 v[90:91], v[218:219], v[60:61], v[90:91]      // 00000000BB7C: D3B0405A 1D6A79DA
	v_mul_f32_dpp v60, v37, v31 row_newbcast:1 row_mask:0xf bank_mask:0xf// 00000000BB84: 0A783EFA FF015125
	v_mov_b32_e32 v61, v60                                     // 00000000BB8C: 7E7A033C
	v_pk_fma_f32 v[104:105], v[232:233], v[60:61], v[104:105]  // 00000000BB90: D3B04068 1DA279E8
	v_pk_fma_f32 v[106:107], v[234:235], v[60:61], v[106:107]  // 00000000BB98: D3B0406A 1DAA79EA
	v_pk_fma_f32 v[120:121], v[248:249], v[60:61], v[120:121]  // 00000000BBA0: D3B04078 1DE279F8
	v_pk_fma_f32 v[122:123], v[250:251], v[60:61], v[122:123]  // 00000000BBA8: D3B0407A 1DEA79FA
	v_mul_f32_dpp v60, v37, v32 row_newbcast:0 row_mask:0xf bank_mask:0xf// 00000000BBB0: 0A7840FA FF015025
	v_mov_b32_e32 v61, v60                                     // 00000000BBB8: 7E7A033C
	v_pk_fma_f32 v[76:77], v[204:205], v[60:61], v[76:77]      // 00000000BBBC: D3B0404C 1D3279CC
	v_pk_fma_f32 v[78:79], v[206:207], v[60:61], v[78:79]      // 00000000BBC4: D3B0404E 1D3A79CE
	v_pk_fma_f32 v[92:93], v[220:221], v[60:61], v[92:93]      // 00000000BBCC: D3B0405C 1D7279DC
	v_pk_fma_f32 v[94:95], v[222:223], v[60:61], v[94:95]      // 00000000BBD4: D3B0405E 1D7A79DE
	v_mul_f32_dpp v60, v37, v32 row_newbcast:1 row_mask:0xf bank_mask:0xf// 00000000BBDC: 0A7840FA FF015125
	v_mov_b32_e32 v61, v60                                     // 00000000BBE4: 7E7A033C
	v_pk_fma_f32 v[108:109], v[236:237], v[60:61], v[108:109]  // 00000000BBE8: D3B0406C 1DB279EC
	v_pk_fma_f32 v[110:111], v[238:239], v[60:61], v[110:111]  // 00000000BBF0: D3B0406E 1DBA79EE
	v_pk_fma_f32 v[124:125], v[252:253], v[60:61], v[124:125]  // 00000000BBF8: D3B0407C 1DF279FC
	v_pk_fma_f32 v[126:127], v[254:255], v[60:61], v[126:127]  // 00000000BC00: D3B0407E 1DFA79FE
	s_waitcnt vmcnt(31)                                        // 00000000BC08: BF8C4F7F
	v_mfma_f32_16x16x32_fp8_fp8 v[192:195], a[8:9], a[200:201], 0// 00000000BC0C: D3F300C0 1A039108
	buffer_load_dwordx4 a[72:75], v47, s[96:99], 0 offen offset:2048// 00000000BC14: E05C1800 8098482F
	v_mfma_f32_16x16x32_fp8_fp8 v[192:195], a[10:11], a[202:203], v[192:195]// 00000000BC1C: D3F300C0 1F03950A
	v_mfma_f32_16x16x32_fp8_fp8 v[192:195], a[12:13], a[204:205], v[192:195]// 00000000BC24: D3F300C0 1F03990C
	v_mfma_f32_16x16x32_fp8_fp8 v[192:195], a[14:15], a[206:207], v[192:195]// 00000000BC2C: D3F300C0 1F039D0E
	v_mfma_f32_16x16x32_fp8_fp8 v[196:199], a[8:9], a[216:217], 0// 00000000BC34: D3F300C4 1A03B108
	v_mfma_f32_16x16x32_fp8_fp8 v[196:199], a[10:11], a[218:219], v[196:199]// 00000000BC3C: D3F300C4 1F13B50A
	v_mfma_f32_16x16x32_fp8_fp8 v[196:199], a[12:13], a[220:221], v[196:199]// 00000000BC44: D3F300C4 1F13B90C
	v_mfma_f32_16x16x32_fp8_fp8 v[196:199], a[14:15], a[222:223], v[196:199]// 00000000BC4C: D3F300C4 1F13BD0E
	v_mfma_f32_16x16x32_fp8_fp8 v[200:203], a[8:9], a[232:233], 0// 00000000BC54: D3F300C8 1A03D108
	buffer_load_dwordx4 a[76:79], v47, s[96:99], 0 offen offset:3072// 00000000BC5C: E05C1C00 80984C2F
	v_mfma_f32_16x16x32_fp8_fp8 v[200:203], a[10:11], a[234:235], v[200:203]// 00000000BC64: D3F300C8 1F23D50A
	v_mfma_f32_16x16x32_fp8_fp8 v[200:203], a[12:13], a[236:237], v[200:203]// 00000000BC6C: D3F300C8 1F23D90C
	v_mfma_f32_16x16x32_fp8_fp8 v[200:203], a[14:15], a[238:239], v[200:203]// 00000000BC74: D3F300C8 1F23DD0E
	v_mfma_f32_16x16x32_fp8_fp8 v[204:207], a[8:9], a[248:249], 0// 00000000BC7C: D3F300CC 1A03F108
	v_mfma_f32_16x16x32_fp8_fp8 v[204:207], a[10:11], a[250:251], v[204:207]// 00000000BC84: D3F300CC 1F33F50A
	v_mfma_f32_16x16x32_fp8_fp8 v[204:207], a[12:13], a[252:253], v[204:207]// 00000000BC8C: D3F300CC 1F33F90C
	v_mfma_f32_16x16x32_fp8_fp8 v[204:207], a[14:15], a[254:255], v[204:207]// 00000000BC94: D3F300CC 1F33FD0E
	s_waitcnt vmcnt(31)                                        // 00000000BC9C: BF8C4F7F
	v_mfma_f32_16x16x32_fp8_fp8 v[208:211], a[24:25], a[200:201], 0// 00000000BCA0: D3F300D0 1A039118
	buffer_load_dwordx4 a[88:91], v48, s[96:99], 0 offen offset:2048// 00000000BCA8: E05C1800 80985830
	v_mfma_f32_16x16x32_fp8_fp8 v[208:211], a[26:27], a[202:203], v[208:211]// 00000000BCB0: D3F300D0 1F43951A
	v_mfma_f32_16x16x32_fp8_fp8 v[208:211], a[28:29], a[204:205], v[208:211]// 00000000BCB8: D3F300D0 1F43991C
	v_mfma_f32_16x16x32_fp8_fp8 v[208:211], a[30:31], a[206:207], v[208:211]// 00000000BCC0: D3F300D0 1F439D1E
	v_mfma_f32_16x16x32_fp8_fp8 v[212:215], a[24:25], a[216:217], 0// 00000000BCC8: D3F300D4 1A03B118
	v_mfma_f32_16x16x32_fp8_fp8 v[212:215], a[26:27], a[218:219], v[212:215]// 00000000BCD0: D3F300D4 1F53B51A
	v_mfma_f32_16x16x32_fp8_fp8 v[212:215], a[28:29], a[220:221], v[212:215]// 00000000BCD8: D3F300D4 1F53B91C
	v_mfma_f32_16x16x32_fp8_fp8 v[212:215], a[30:31], a[222:223], v[212:215]// 00000000BCE0: D3F300D4 1F53BD1E
	v_mfma_f32_16x16x32_fp8_fp8 v[216:219], a[24:25], a[232:233], 0// 00000000BCE8: D3F300D8 1A03D118
	buffer_load_dwordx4 a[92:95], v48, s[96:99], 0 offen offset:3072// 00000000BCF0: E05C1C00 80985C30
	v_mfma_f32_16x16x32_fp8_fp8 v[216:219], a[26:27], a[234:235], v[216:219]// 00000000BCF8: D3F300D8 1F63D51A
	v_mfma_f32_16x16x32_fp8_fp8 v[216:219], a[28:29], a[236:237], v[216:219]// 00000000BD00: D3F300D8 1F63D91C
	v_mfma_f32_16x16x32_fp8_fp8 v[216:219], a[30:31], a[238:239], v[216:219]// 00000000BD08: D3F300D8 1F63DD1E
	v_mfma_f32_16x16x32_fp8_fp8 v[220:223], a[24:25], a[248:249], 0// 00000000BD10: D3F300DC 1A03F118
	v_mfma_f32_16x16x32_fp8_fp8 v[220:223], a[26:27], a[250:251], v[220:223]// 00000000BD18: D3F300DC 1F73F51A
	v_mfma_f32_16x16x32_fp8_fp8 v[220:223], a[28:29], a[252:253], v[220:223]// 00000000BD20: D3F300DC 1F73F91C
	v_mfma_f32_16x16x32_fp8_fp8 v[220:223], a[30:31], a[254:255], v[220:223]// 00000000BD28: D3F300DC 1F73FD1E
	s_waitcnt vmcnt(31)                                        // 00000000BD30: BF8C4F7F
	v_mfma_f32_16x16x32_fp8_fp8 v[224:227], a[40:41], a[200:201], 0// 00000000BD34: D3F300E0 1A039128
	buffer_load_dwordx4 a[104:107], v49, s[96:99], 0 offen offset:2048// 00000000BD3C: E05C1800 80986831
	v_mfma_f32_16x16x32_fp8_fp8 v[224:227], a[42:43], a[202:203], v[224:227]// 00000000BD44: D3F300E0 1F83952A
	v_mfma_f32_16x16x32_fp8_fp8 v[224:227], a[44:45], a[204:205], v[224:227]// 00000000BD4C: D3F300E0 1F83992C
	v_mfma_f32_16x16x32_fp8_fp8 v[224:227], a[46:47], a[206:207], v[224:227]// 00000000BD54: D3F300E0 1F839D2E
	v_mfma_f32_16x16x32_fp8_fp8 v[228:231], a[40:41], a[216:217], 0// 00000000BD5C: D3F300E4 1A03B128
	v_mfma_f32_16x16x32_fp8_fp8 v[228:231], a[42:43], a[218:219], v[228:231]// 00000000BD64: D3F300E4 1F93B52A
	v_mfma_f32_16x16x32_fp8_fp8 v[228:231], a[44:45], a[220:221], v[228:231]// 00000000BD6C: D3F300E4 1F93B92C
	v_mfma_f32_16x16x32_fp8_fp8 v[228:231], a[46:47], a[222:223], v[228:231]// 00000000BD74: D3F300E4 1F93BD2E
	v_mfma_f32_16x16x32_fp8_fp8 v[232:235], a[40:41], a[232:233], 0// 00000000BD7C: D3F300E8 1A03D128
	buffer_load_dwordx4 a[108:111], v49, s[96:99], 0 offen offset:3072// 00000000BD84: E05C1C00 80986C31
	v_mfma_f32_16x16x32_fp8_fp8 v[232:235], a[42:43], a[234:235], v[232:235]// 00000000BD8C: D3F300E8 1FA3D52A
	v_mfma_f32_16x16x32_fp8_fp8 v[232:235], a[44:45], a[236:237], v[232:235]// 00000000BD94: D3F300E8 1FA3D92C
	v_mfma_f32_16x16x32_fp8_fp8 v[232:235], a[46:47], a[238:239], v[232:235]// 00000000BD9C: D3F300E8 1FA3DD2E
	v_mfma_f32_16x16x32_fp8_fp8 v[236:239], a[40:41], a[248:249], 0// 00000000BDA4: D3F300EC 1A03F128
	v_mfma_f32_16x16x32_fp8_fp8 v[236:239], a[42:43], a[250:251], v[236:239]// 00000000BDAC: D3F300EC 1FB3F52A
	v_mfma_f32_16x16x32_fp8_fp8 v[236:239], a[44:45], a[252:253], v[236:239]// 00000000BDB4: D3F300EC 1FB3F92C
	v_mfma_f32_16x16x32_fp8_fp8 v[236:239], a[46:47], a[254:255], v[236:239]// 00000000BDBC: D3F300EC 1FB3FD2E
	s_waitcnt vmcnt(31)                                        // 00000000BDC4: BF8C4F7F
	v_mfma_f32_16x16x32_fp8_fp8 v[240:243], a[56:57], a[200:201], 0// 00000000BDC8: D3F300F0 1A039138
	buffer_load_dwordx4 a[120:123], v50, s[96:99], 0 offen offset:2048// 00000000BDD0: E05C1800 80987832
	v_mfma_f32_16x16x32_fp8_fp8 v[240:243], a[58:59], a[202:203], v[240:243]// 00000000BDD8: D3F300F0 1FC3953A
	v_mfma_f32_16x16x32_fp8_fp8 v[240:243], a[60:61], a[204:205], v[240:243]// 00000000BDE0: D3F300F0 1FC3993C
	v_mfma_f32_16x16x32_fp8_fp8 v[240:243], a[62:63], a[206:207], v[240:243]// 00000000BDE8: D3F300F0 1FC39D3E
	v_mfma_f32_16x16x32_fp8_fp8 v[244:247], a[56:57], a[216:217], 0// 00000000BDF0: D3F300F4 1A03B138
	v_mfma_f32_16x16x32_fp8_fp8 v[244:247], a[58:59], a[218:219], v[244:247]// 00000000BDF8: D3F300F4 1FD3B53A
	v_mfma_f32_16x16x32_fp8_fp8 v[244:247], a[60:61], a[220:221], v[244:247]// 00000000BE00: D3F300F4 1FD3B93C
	v_mfma_f32_16x16x32_fp8_fp8 v[244:247], a[62:63], a[222:223], v[244:247]// 00000000BE08: D3F300F4 1FD3BD3E
	v_mfma_f32_16x16x32_fp8_fp8 v[248:251], a[56:57], a[232:233], 0// 00000000BE10: D3F300F8 1A03D138
	buffer_load_dwordx4 a[124:127], v50, s[96:99], 0 offen offset:3072// 00000000BE18: E05C1C00 80987C32
	v_mfma_f32_16x16x32_fp8_fp8 v[248:251], a[58:59], a[234:235], v[248:251]// 00000000BE20: D3F300F8 1FE3D53A
	v_mfma_f32_16x16x32_fp8_fp8 v[248:251], a[60:61], a[236:237], v[248:251]// 00000000BE28: D3F300F8 1FE3D93C
	v_mfma_f32_16x16x32_fp8_fp8 v[248:251], a[62:63], a[238:239], v[248:251]// 00000000BE30: D3F300F8 1FE3DD3E
	v_mfma_f32_16x16x32_fp8_fp8 v[252:255], a[56:57], a[248:249], 0// 00000000BE38: D3F300FC 1A03F138
	v_mfma_f32_16x16x32_fp8_fp8 v[252:255], a[58:59], a[250:251], v[252:255]// 00000000BE40: D3F300FC 1FF3F53A
	v_mfma_f32_16x16x32_fp8_fp8 v[252:255], a[60:61], a[252:253], v[252:255]// 00000000BE48: D3F300FC 1FF3F93C
	v_mfma_f32_16x16x32_fp8_fp8 v[252:255], a[62:63], a[254:255], v[252:255]// 00000000BE50: D3F300FC 1FF3FD3E
	v_mul_f32_dpp v60, v37, v33 row_newbcast:2 row_mask:0xf bank_mask:0xf// 00000000BE58: 0A7842FA FF015225
	v_mov_b32_e32 v61, v60                                     // 00000000BE60: 7E7A033C
	v_pk_fma_f32 v[64:65], v[192:193], v[60:61], v[64:65]      // 00000000BE64: D3B04040 1D0279C0
	v_pk_fma_f32 v[66:67], v[194:195], v[60:61], v[66:67]      // 00000000BE6C: D3B04042 1D0A79C2
	v_pk_fma_f32 v[80:81], v[208:209], v[60:61], v[80:81]      // 00000000BE74: D3B04050 1D4279D0
	v_pk_fma_f32 v[82:83], v[210:211], v[60:61], v[82:83]      // 00000000BE7C: D3B04052 1D4A79D2
	v_mul_f32_dpp v60, v37, v33 row_newbcast:3 row_mask:0xf bank_mask:0xf// 00000000BE84: 0A7842FA FF015325
	v_mov_b32_e32 v61, v60                                     // 00000000BE8C: 7E7A033C
	v_pk_fma_f32 v[96:97], v[224:225], v[60:61], v[96:97]      // 00000000BE90: D3B04060 1D8279E0
	v_pk_fma_f32 v[98:99], v[226:227], v[60:61], v[98:99]      // 00000000BE98: D3B04062 1D8A79E2
	v_pk_fma_f32 v[112:113], v[240:241], v[60:61], v[112:113]  // 00000000BEA0: D3B04070 1DC279F0
	v_pk_fma_f32 v[114:115], v[242:243], v[60:61], v[114:115]  // 00000000BEA8: D3B04072 1DCA79F2
	v_mul_f32_dpp v60, v37, v34 row_newbcast:2 row_mask:0xf bank_mask:0xf// 00000000BEB0: 0A7844FA FF015225
	v_mov_b32_e32 v61, v60                                     // 00000000BEB8: 7E7A033C
	v_pk_fma_f32 v[68:69], v[196:197], v[60:61], v[68:69]      // 00000000BEBC: D3B04044 1D1279C4
	v_pk_fma_f32 v[70:71], v[198:199], v[60:61], v[70:71]      // 00000000BEC4: D3B04046 1D1A79C6
	v_pk_fma_f32 v[84:85], v[212:213], v[60:61], v[84:85]      // 00000000BECC: D3B04054 1D5279D4
	v_pk_fma_f32 v[86:87], v[214:215], v[60:61], v[86:87]      // 00000000BED4: D3B04056 1D5A79D6
	v_mul_f32_dpp v60, v37, v34 row_newbcast:3 row_mask:0xf bank_mask:0xf// 00000000BEDC: 0A7844FA FF015325
	v_mov_b32_e32 v61, v60                                     // 00000000BEE4: 7E7A033C
	v_pk_fma_f32 v[100:101], v[228:229], v[60:61], v[100:101]  // 00000000BEE8: D3B04064 1D9279E4
	v_pk_fma_f32 v[102:103], v[230:231], v[60:61], v[102:103]  // 00000000BEF0: D3B04066 1D9A79E6
	v_pk_fma_f32 v[116:117], v[244:245], v[60:61], v[116:117]  // 00000000BEF8: D3B04074 1DD279F4
	v_pk_fma_f32 v[118:119], v[246:247], v[60:61], v[118:119]  // 00000000BF00: D3B04076 1DDA79F6
	v_mul_f32_dpp v60, v37, v35 row_newbcast:2 row_mask:0xf bank_mask:0xf// 00000000BF08: 0A7846FA FF015225
	v_mov_b32_e32 v61, v60                                     // 00000000BF10: 7E7A033C
	v_pk_fma_f32 v[72:73], v[200:201], v[60:61], v[72:73]      // 00000000BF14: D3B04048 1D2279C8
	v_pk_fma_f32 v[74:75], v[202:203], v[60:61], v[74:75]      // 00000000BF1C: D3B0404A 1D2A79CA
	v_pk_fma_f32 v[88:89], v[216:217], v[60:61], v[88:89]      // 00000000BF24: D3B04058 1D6279D8
	v_pk_fma_f32 v[90:91], v[218:219], v[60:61], v[90:91]      // 00000000BF2C: D3B0405A 1D6A79DA
	v_mul_f32_dpp v60, v37, v35 row_newbcast:3 row_mask:0xf bank_mask:0xf// 00000000BF34: 0A7846FA FF015325
	v_mov_b32_e32 v61, v60                                     // 00000000BF3C: 7E7A033C
	v_pk_fma_f32 v[104:105], v[232:233], v[60:61], v[104:105]  // 00000000BF40: D3B04068 1DA279E8
	v_pk_fma_f32 v[106:107], v[234:235], v[60:61], v[106:107]  // 00000000BF48: D3B0406A 1DAA79EA
	v_pk_fma_f32 v[120:121], v[248:249], v[60:61], v[120:121]  // 00000000BF50: D3B04078 1DE279F8
	v_pk_fma_f32 v[122:123], v[250:251], v[60:61], v[122:123]  // 00000000BF58: D3B0407A 1DEA79FA
	v_mul_f32_dpp v60, v37, v36 row_newbcast:2 row_mask:0xf bank_mask:0xf// 00000000BF60: 0A7848FA FF015225
	v_mov_b32_e32 v61, v60                                     // 00000000BF68: 7E7A033C
	v_pk_fma_f32 v[76:77], v[204:205], v[60:61], v[76:77]      // 00000000BF6C: D3B0404C 1D3279CC
	v_pk_fma_f32 v[78:79], v[206:207], v[60:61], v[78:79]      // 00000000BF74: D3B0404E 1D3A79CE
	v_pk_fma_f32 v[92:93], v[220:221], v[60:61], v[92:93]      // 00000000BF7C: D3B0405C 1D7279DC
	v_pk_fma_f32 v[94:95], v[222:223], v[60:61], v[94:95]      // 00000000BF84: D3B0405E 1D7A79DE
	v_mul_f32_dpp v60, v37, v36 row_newbcast:3 row_mask:0xf bank_mask:0xf// 00000000BF8C: 0A7848FA FF015325
	v_mov_b32_e32 v61, v60                                     // 00000000BF94: 7E7A033C
	v_pk_fma_f32 v[108:109], v[236:237], v[60:61], v[108:109]  // 00000000BF98: D3B0406C 1DB279EC
	v_pk_fma_f32 v[110:111], v[238:239], v[60:61], v[110:111]  // 00000000BFA0: D3B0406E 1DBA79EE
	v_pk_fma_f32 v[124:125], v[252:253], v[60:61], v[124:125]  // 00000000BFA8: D3B0407C 1DF279FC
	v_pk_fma_f32 v[126:127], v[254:255], v[60:61], v[126:127]  // 00000000BFB0: D3B0407E 1DFA79FE
	s_add_u32 s56, 0x100, s76                                  // 00000000BFB8: 80384CFF 00000100
	s_cmp_lt_u32 s56, s77                                      // 00000000BFC0: BF0A4D38
	s_cselect_b32 s4, s4, 0                                    // 00000000BFC4: 85048004
	s_add_u32 s32, s4, s32                                     // 00000000BFC8: 80202004
	s_addc_u32 s33, 0, s33                                     // 00000000BFCC: 82212180
	s_waitcnt vmcnt(8)                                         // 00000000BFD0: BF8C0F78
	s_barrier                                                  // 00000000BFD4: BF8A0000
	v_mfma_f32_16x16x32_fp8_fp8 v[192:195], a[64:65], a[192:193], 0// 00000000BFD8: D3F300C0 1A038140
	buffer_load_dwordx4 a[0:3], v47, s[24:27], 0 offen         // 00000000BFE0: E05C1000 8086002F
	v_mfma_f32_16x16x32_fp8_fp8 v[192:195], a[66:67], a[194:195], v[192:195]// 00000000BFE8: D3F300C0 1F038542
	v_mfma_f32_16x16x32_fp8_fp8 v[192:195], a[68:69], a[196:197], v[192:195]// 00000000BFF0: D3F300C0 1F038944
	buffer_load_dword v37, v17, s[32:35], 0 offen              // 00000000BFF8: E0501000 80082511
	v_mfma_f32_16x16x32_fp8_fp8 v[192:195], a[70:71], a[198:199], v[192:195]// 00000000C000: D3F300C0 1F038D46
	v_mfma_f32_16x16x32_fp8_fp8 v[196:199], a[64:65], a[208:209], 0// 00000000C008: D3F300C4 1A03A140
	v_mfma_f32_16x16x32_fp8_fp8 v[196:199], a[66:67], a[210:211], v[196:199]// 00000000C010: D3F300C4 1F13A542
	v_mfma_f32_16x16x32_fp8_fp8 v[196:199], a[68:69], a[212:213], v[196:199]// 00000000C018: D3F300C4 1F13A944
	v_mfma_f32_16x16x32_fp8_fp8 v[196:199], a[70:71], a[214:215], v[196:199]// 00000000C020: D3F300C4 1F13AD46
	v_mfma_f32_16x16x32_fp8_fp8 v[200:203], a[64:65], a[224:225], 0// 00000000C028: D3F300C8 1A03C140
	buffer_load_dwordx4 a[4:7], v47, s[24:27], 0 offen offset:1024// 00000000C030: E05C1400 8086042F
	v_mfma_f32_16x16x32_fp8_fp8 v[200:203], a[66:67], a[226:227], v[200:203]// 00000000C038: D3F300C8 1F23C542
	v_mfma_f32_16x16x32_fp8_fp8 v[200:203], a[68:69], a[228:229], v[200:203]// 00000000C040: D3F300C8 1F23C944
	v_mfma_f32_16x16x32_fp8_fp8 v[200:203], a[70:71], a[230:231], v[200:203]// 00000000C048: D3F300C8 1F23CD46
	v_mfma_f32_16x16x32_fp8_fp8 v[204:207], a[64:65], a[240:241], 0// 00000000C050: D3F300CC 1A03E140
	v_mfma_f32_16x16x32_fp8_fp8 v[204:207], a[66:67], a[242:243], v[204:207]// 00000000C058: D3F300CC 1F33E542
	v_mfma_f32_16x16x32_fp8_fp8 v[204:207], a[68:69], a[244:245], v[204:207]// 00000000C060: D3F300CC 1F33E944
	v_mfma_f32_16x16x32_fp8_fp8 v[204:207], a[70:71], a[246:247], v[204:207]// 00000000C068: D3F300CC 1F33ED46
	v_mfma_f32_16x16x32_fp8_fp8 v[208:211], a[80:81], a[192:193], 0// 00000000C070: D3F300D0 1A038150
	buffer_load_dwordx4 a[16:19], v48, s[24:27], 0 offen       // 00000000C078: E05C1000 80861030
	v_mfma_f32_16x16x32_fp8_fp8 v[208:211], a[82:83], a[194:195], v[208:211]// 00000000C080: D3F300D0 1F438552
	v_mfma_f32_16x16x32_fp8_fp8 v[208:211], a[84:85], a[196:197], v[208:211]// 00000000C088: D3F300D0 1F438954
	v_mfma_f32_16x16x32_fp8_fp8 v[208:211], a[86:87], a[198:199], v[208:211]// 00000000C090: D3F300D0 1F438D56
	v_mfma_f32_16x16x32_fp8_fp8 v[212:215], a[80:81], a[208:209], 0// 00000000C098: D3F300D4 1A03A150
	v_mfma_f32_16x16x32_fp8_fp8 v[212:215], a[82:83], a[210:211], v[212:215]// 00000000C0A0: D3F300D4 1F53A552
	v_mfma_f32_16x16x32_fp8_fp8 v[212:215], a[84:85], a[212:213], v[212:215]// 00000000C0A8: D3F300D4 1F53A954
	v_mfma_f32_16x16x32_fp8_fp8 v[212:215], a[86:87], a[214:215], v[212:215]// 00000000C0B0: D3F300D4 1F53AD56
	v_mfma_f32_16x16x32_fp8_fp8 v[216:219], a[80:81], a[224:225], 0// 00000000C0B8: D3F300D8 1A03C150
	buffer_load_dwordx4 a[20:23], v48, s[24:27], 0 offen offset:1024// 00000000C0C0: E05C1400 80861430
	v_mfma_f32_16x16x32_fp8_fp8 v[216:219], a[82:83], a[226:227], v[216:219]// 00000000C0C8: D3F300D8 1F63C552
	v_mfma_f32_16x16x32_fp8_fp8 v[216:219], a[84:85], a[228:229], v[216:219]// 00000000C0D0: D3F300D8 1F63C954
	v_mfma_f32_16x16x32_fp8_fp8 v[216:219], a[86:87], a[230:231], v[216:219]// 00000000C0D8: D3F300D8 1F63CD56
	v_mfma_f32_16x16x32_fp8_fp8 v[220:223], a[80:81], a[240:241], 0// 00000000C0E0: D3F300DC 1A03E150
	v_mfma_f32_16x16x32_fp8_fp8 v[220:223], a[82:83], a[242:243], v[220:223]// 00000000C0E8: D3F300DC 1F73E552
	v_mfma_f32_16x16x32_fp8_fp8 v[220:223], a[84:85], a[244:245], v[220:223]// 00000000C0F0: D3F300DC 1F73E954
	v_mfma_f32_16x16x32_fp8_fp8 v[220:223], a[86:87], a[246:247], v[220:223]// 00000000C0F8: D3F300DC 1F73ED56
	s_waitcnt vmcnt(13)                                        // 00000000C100: BF8C0F7D
	v_mfma_f32_16x16x32_fp8_fp8 v[224:227], a[96:97], a[192:193], 0// 00000000C104: D3F300E0 1A038160
	buffer_load_dwordx4 a[32:35], v49, s[24:27], 0 offen       // 00000000C10C: E05C1000 80862031
	v_mfma_f32_16x16x32_fp8_fp8 v[224:227], a[98:99], a[194:195], v[224:227]// 00000000C114: D3F300E0 1F838562
	v_mfma_f32_16x16x32_fp8_fp8 v[224:227], a[100:101], a[196:197], v[224:227]// 00000000C11C: D3F300E0 1F838964
	ds_read_b128 a[128:131], v2                                // 00000000C124: DBFE0000 80000002
	ds_read_b128 a[132:135], v2 offset:64                      // 00000000C12C: DBFE0040 84000002
	ds_read_b32 v21, v3 offset:16512                           // 00000000C134: D86C4080 15000003
	ds_read_b32 v22, v3 offset:16768                           // 00000000C13C: D86C4180 16000003
	v_mfma_f32_16x16x32_fp8_fp8 v[224:227], a[102:103], a[198:199], v[224:227]// 00000000C144: D3F300E0 1F838D66
	v_mfma_f32_16x16x32_fp8_fp8 v[228:231], a[96:97], a[208:209], 0// 00000000C14C: D3F300E4 1A03A160
	v_mfma_f32_16x16x32_fp8_fp8 v[228:231], a[98:99], a[210:211], v[228:231]// 00000000C154: D3F300E4 1F93A562
	v_mfma_f32_16x16x32_fp8_fp8 v[228:231], a[100:101], a[212:213], v[228:231]// 00000000C15C: D3F300E4 1F93A964
	ds_read_b128 a[136:139], v2 offset:128                     // 00000000C164: DBFE0080 88000002
	ds_read_b128 a[140:143], v2 offset:192                     // 00000000C16C: DBFE00C0 8C000002
	ds_read_b32 v23, v3 offset:17536                           // 00000000C174: D86C4480 17000003
	ds_read_b32 v24, v3 offset:17792                           // 00000000C17C: D86C4580 18000003
	v_mfma_f32_16x16x32_fp8_fp8 v[228:231], a[102:103], a[214:215], v[228:231]// 00000000C184: D3F300E4 1F93AD66
	v_mfma_f32_16x16x32_fp8_fp8 v[232:235], a[96:97], a[224:225], 0// 00000000C18C: D3F300E8 1A03C160
	buffer_load_dwordx4 a[36:39], v49, s[24:27], 0 offen offset:1024// 00000000C194: E05C1400 80862431
	v_mfma_f32_16x16x32_fp8_fp8 v[232:235], a[98:99], a[226:227], v[232:235]// 00000000C19C: D3F300E8 1FA3C562
	v_mfma_f32_16x16x32_fp8_fp8 v[232:235], a[100:101], a[228:229], v[232:235]// 00000000C1A4: D3F300E8 1FA3C964
	ds_read_b128 a[144:147], v2 offset:1024                    // 00000000C1AC: DBFE0400 90000002
	ds_read_b128 a[148:151], v2 offset:1088                    // 00000000C1B4: DBFE0440 94000002
	ds_read_b32 v25, v3 offset:17024                           // 00000000C1BC: D86C4280 19000003
	ds_read_b32 v26, v3 offset:17280                           // 00000000C1C4: D86C4380 1A000003
	v_mfma_f32_16x16x32_fp8_fp8 v[232:235], a[102:103], a[230:231], v[232:235]// 00000000C1CC: D3F300E8 1FA3CD66
	v_mfma_f32_16x16x32_fp8_fp8 v[236:239], a[96:97], a[240:241], 0// 00000000C1D4: D3F300EC 1A03E160
	v_mfma_f32_16x16x32_fp8_fp8 v[236:239], a[98:99], a[242:243], v[236:239]// 00000000C1DC: D3F300EC 1FB3E562
	v_mfma_f32_16x16x32_fp8_fp8 v[236:239], a[100:101], a[244:245], v[236:239]// 00000000C1E4: D3F300EC 1FB3E964
	ds_read_b128 a[152:155], v2 offset:1152                    // 00000000C1EC: DBFE0480 98000002
	ds_read_b128 a[156:159], v2 offset:1216                    // 00000000C1F4: DBFE04C0 9C000002
	ds_read_b32 v27, v3 offset:18048                           // 00000000C1FC: D86C4680 1B000003
	ds_read_b32 v28, v3 offset:18304                           // 00000000C204: D86C4780 1C000003
	v_mfma_f32_16x16x32_fp8_fp8 v[236:239], a[102:103], a[246:247], v[236:239]// 00000000C20C: D3F300EC 1FB3ED66
	s_waitcnt vmcnt(13)                                        // 00000000C214: BF8C0F7D
	v_mfma_f32_16x16x32_fp8_fp8 v[240:243], a[112:113], a[192:193], 0// 00000000C218: D3F300F0 1A038170
	buffer_load_dwordx4 a[48:51], v50, s[24:27], 0 offen       // 00000000C220: E05C1000 80863032
	v_mfma_f32_16x16x32_fp8_fp8 v[240:243], a[114:115], a[194:195], v[240:243]// 00000000C228: D3F300F0 1FC38572
	v_mfma_f32_16x16x32_fp8_fp8 v[240:243], a[116:117], a[196:197], v[240:243]// 00000000C230: D3F300F0 1FC38974
	ds_read_b128 a[160:163], v2 offset:2048                    // 00000000C238: DBFE0800 A0000002
	ds_read_b128 a[164:167], v2 offset:2112                    // 00000000C240: DBFE0840 A4000002
	v_mfma_f32_16x16x32_fp8_fp8 v[240:243], a[118:119], a[198:199], v[240:243]// 00000000C248: D3F300F0 1FC38D76
	v_mfma_f32_16x16x32_fp8_fp8 v[244:247], a[112:113], a[208:209], 0// 00000000C250: D3F300F4 1A03A170
	v_mfma_f32_16x16x32_fp8_fp8 v[244:247], a[114:115], a[210:211], v[244:247]// 00000000C258: D3F300F4 1FD3A572
	v_mfma_f32_16x16x32_fp8_fp8 v[244:247], a[116:117], a[212:213], v[244:247]// 00000000C260: D3F300F4 1FD3A974
	ds_read_b128 a[168:171], v2 offset:2176                    // 00000000C268: DBFE0880 A8000002
	ds_read_b128 a[172:175], v2 offset:2240                    // 00000000C270: DBFE08C0 AC000002
	v_mfma_f32_16x16x32_fp8_fp8 v[244:247], a[118:119], a[214:215], v[244:247]// 00000000C278: D3F300F4 1FD3AD76
	v_mfma_f32_16x16x32_fp8_fp8 v[248:251], a[112:113], a[224:225], 0// 00000000C280: D3F300F8 1A03C170
	buffer_load_dwordx4 a[52:55], v50, s[24:27], 0 offen offset:1024// 00000000C288: E05C1400 80863432
	v_mfma_f32_16x16x32_fp8_fp8 v[248:251], a[114:115], a[226:227], v[248:251]// 00000000C290: D3F300F8 1FE3C572
	v_mfma_f32_16x16x32_fp8_fp8 v[248:251], a[116:117], a[228:229], v[248:251]// 00000000C298: D3F300F8 1FE3C974
	ds_read_b128 a[176:179], v2 offset:3072                    // 00000000C2A0: DBFE0C00 B0000002
	ds_read_b128 a[180:183], v2 offset:3136                    // 00000000C2A8: DBFE0C40 B4000002
	v_mfma_f32_16x16x32_fp8_fp8 v[248:251], a[118:119], a[230:231], v[248:251]// 00000000C2B0: D3F300F8 1FE3CD76
	v_mfma_f32_16x16x32_fp8_fp8 v[252:255], a[112:113], a[240:241], 0// 00000000C2B8: D3F300FC 1A03E170
	v_mfma_f32_16x16x32_fp8_fp8 v[252:255], a[114:115], a[242:243], v[252:255]// 00000000C2C0: D3F300FC 1FF3E572
	v_mfma_f32_16x16x32_fp8_fp8 v[252:255], a[116:117], a[244:245], v[252:255]// 00000000C2C8: D3F300FC 1FF3E974
	ds_read_b128 a[184:187], v2 offset:3200                    // 00000000C2D0: DBFE0C80 B8000002
	ds_read_b128 a[188:191], v2 offset:3264                    // 00000000C2D8: DBFE0CC0 BC000002
	v_mfma_f32_16x16x32_fp8_fp8 v[252:255], a[118:119], a[246:247], v[252:255]// 00000000C2E0: D3F300FC 1FF3ED76
	v_mul_f32_dpp v60, v38, v29 row_newbcast:0 row_mask:0xf bank_mask:0xf// 00000000C2E8: 0A783AFA FF015026
	v_mov_b32_e32 v61, v60                                     // 00000000C2F0: 7E7A033C
	v_pk_fma_f32 v[128:129], v[192:193], v[60:61], v[128:129]  // 00000000C2F4: D3B04080 1E0279C0
	v_pk_fma_f32 v[130:131], v[194:195], v[60:61], v[130:131]  // 00000000C2FC: D3B04082 1E0A79C2
	v_pk_fma_f32 v[144:145], v[208:209], v[60:61], v[144:145]  // 00000000C304: D3B04090 1E4279D0
	v_pk_fma_f32 v[146:147], v[210:211], v[60:61], v[146:147]  // 00000000C30C: D3B04092 1E4A79D2
	v_mul_f32_dpp v60, v38, v29 row_newbcast:1 row_mask:0xf bank_mask:0xf// 00000000C314: 0A783AFA FF015126
	v_mov_b32_e32 v61, v60                                     // 00000000C31C: 7E7A033C
	v_pk_fma_f32 v[160:161], v[224:225], v[60:61], v[160:161]  // 00000000C320: D3B040A0 1E8279E0
	v_pk_fma_f32 v[162:163], v[226:227], v[60:61], v[162:163]  // 00000000C328: D3B040A2 1E8A79E2
	v_pk_fma_f32 v[176:177], v[240:241], v[60:61], v[176:177]  // 00000000C330: D3B040B0 1EC279F0
	v_pk_fma_f32 v[178:179], v[242:243], v[60:61], v[178:179]  // 00000000C338: D3B040B2 1ECA79F2
	v_mul_f32_dpp v60, v38, v30 row_newbcast:0 row_mask:0xf bank_mask:0xf// 00000000C340: 0A783CFA FF015026
	v_mov_b32_e32 v61, v60                                     // 00000000C348: 7E7A033C
	v_pk_fma_f32 v[132:133], v[196:197], v[60:61], v[132:133]  // 00000000C34C: D3B04084 1E1279C4
	v_pk_fma_f32 v[134:135], v[198:199], v[60:61], v[134:135]  // 00000000C354: D3B04086 1E1A79C6
	v_pk_fma_f32 v[148:149], v[212:213], v[60:61], v[148:149]  // 00000000C35C: D3B04094 1E5279D4
	v_pk_fma_f32 v[150:151], v[214:215], v[60:61], v[150:151]  // 00000000C364: D3B04096 1E5A79D6
	v_mul_f32_dpp v60, v38, v30 row_newbcast:1 row_mask:0xf bank_mask:0xf// 00000000C36C: 0A783CFA FF015126
	v_mov_b32_e32 v61, v60                                     // 00000000C374: 7E7A033C
	v_pk_fma_f32 v[164:165], v[228:229], v[60:61], v[164:165]  // 00000000C378: D3B040A4 1E9279E4
	v_pk_fma_f32 v[166:167], v[230:231], v[60:61], v[166:167]  // 00000000C380: D3B040A6 1E9A79E6
	v_pk_fma_f32 v[180:181], v[244:245], v[60:61], v[180:181]  // 00000000C388: D3B040B4 1ED279F4
	v_pk_fma_f32 v[182:183], v[246:247], v[60:61], v[182:183]  // 00000000C390: D3B040B6 1EDA79F6
	v_mul_f32_dpp v60, v38, v31 row_newbcast:0 row_mask:0xf bank_mask:0xf// 00000000C398: 0A783EFA FF015026
	v_mov_b32_e32 v61, v60                                     // 00000000C3A0: 7E7A033C
	v_pk_fma_f32 v[136:137], v[200:201], v[60:61], v[136:137]  // 00000000C3A4: D3B04088 1E2279C8
	v_pk_fma_f32 v[138:139], v[202:203], v[60:61], v[138:139]  // 00000000C3AC: D3B0408A 1E2A79CA
	v_pk_fma_f32 v[152:153], v[216:217], v[60:61], v[152:153]  // 00000000C3B4: D3B04098 1E6279D8
	v_pk_fma_f32 v[154:155], v[218:219], v[60:61], v[154:155]  // 00000000C3BC: D3B0409A 1E6A79DA
	v_mul_f32_dpp v60, v38, v31 row_newbcast:1 row_mask:0xf bank_mask:0xf// 00000000C3C4: 0A783EFA FF015126
	v_mov_b32_e32 v61, v60                                     // 00000000C3CC: 7E7A033C
	v_pk_fma_f32 v[168:169], v[232:233], v[60:61], v[168:169]  // 00000000C3D0: D3B040A8 1EA279E8
	v_pk_fma_f32 v[170:171], v[234:235], v[60:61], v[170:171]  // 00000000C3D8: D3B040AA 1EAA79EA
	v_pk_fma_f32 v[184:185], v[248:249], v[60:61], v[184:185]  // 00000000C3E0: D3B040B8 1EE279F8
	v_pk_fma_f32 v[186:187], v[250:251], v[60:61], v[186:187]  // 00000000C3E8: D3B040BA 1EEA79FA
	v_mul_f32_dpp v60, v38, v32 row_newbcast:0 row_mask:0xf bank_mask:0xf// 00000000C3F0: 0A7840FA FF015026
	v_mov_b32_e32 v61, v60                                     // 00000000C3F8: 7E7A033C
	v_pk_fma_f32 v[140:141], v[204:205], v[60:61], v[140:141]  // 00000000C3FC: D3B0408C 1E3279CC
	v_pk_fma_f32 v[142:143], v[206:207], v[60:61], v[142:143]  // 00000000C404: D3B0408E 1E3A79CE
	v_pk_fma_f32 v[156:157], v[220:221], v[60:61], v[156:157]  // 00000000C40C: D3B0409C 1E7279DC
	v_pk_fma_f32 v[158:159], v[222:223], v[60:61], v[158:159]  // 00000000C414: D3B0409E 1E7A79DE
	v_mul_f32_dpp v60, v38, v32 row_newbcast:1 row_mask:0xf bank_mask:0xf// 00000000C41C: 0A7840FA FF015126
	v_mov_b32_e32 v61, v60                                     // 00000000C424: 7E7A033C
	v_pk_fma_f32 v[172:173], v[236:237], v[60:61], v[172:173]  // 00000000C428: D3B040AC 1EB279EC
	v_pk_fma_f32 v[174:175], v[238:239], v[60:61], v[174:175]  // 00000000C430: D3B040AE 1EBA79EE
	v_pk_fma_f32 v[188:189], v[252:253], v[60:61], v[188:189]  // 00000000C438: D3B040BC 1EF279FC
	v_pk_fma_f32 v[190:191], v[254:255], v[60:61], v[190:191]  // 00000000C440: D3B040BE 1EFA79FE
	s_waitcnt vmcnt(13)                                        // 00000000C448: BF8C0F7D
	v_mfma_f32_16x16x32_fp8_fp8 v[192:195], a[72:73], a[200:201], 0// 00000000C44C: D3F300C0 1A039148
	buffer_load_dwordx4 a[8:11], v47, s[24:27], 0 offen offset:2048// 00000000C454: E05C1800 8086082F
	v_mfma_f32_16x16x32_fp8_fp8 v[192:195], a[74:75], a[202:203], v[192:195]// 00000000C45C: D3F300C0 1F03954A
	v_mfma_f32_16x16x32_fp8_fp8 v[192:195], a[76:77], a[204:205], v[192:195]// 00000000C464: D3F300C0 1F03994C
	v_mfma_f32_16x16x32_fp8_fp8 v[192:195], a[78:79], a[206:207], v[192:195]// 00000000C46C: D3F300C0 1F039D4E
	v_mfma_f32_16x16x32_fp8_fp8 v[196:199], a[72:73], a[216:217], 0// 00000000C474: D3F300C4 1A03B148
	v_mfma_f32_16x16x32_fp8_fp8 v[196:199], a[74:75], a[218:219], v[196:199]// 00000000C47C: D3F300C4 1F13B54A
	v_mfma_f32_16x16x32_fp8_fp8 v[196:199], a[76:77], a[220:221], v[196:199]// 00000000C484: D3F300C4 1F13B94C
	v_mfma_f32_16x16x32_fp8_fp8 v[196:199], a[78:79], a[222:223], v[196:199]// 00000000C48C: D3F300C4 1F13BD4E
	v_mfma_f32_16x16x32_fp8_fp8 v[200:203], a[72:73], a[232:233], 0// 00000000C494: D3F300C8 1A03D148
	buffer_load_dwordx4 a[12:15], v47, s[24:27], 0 offen offset:3072// 00000000C49C: E05C1C00 80860C2F
	v_mfma_f32_16x16x32_fp8_fp8 v[200:203], a[74:75], a[234:235], v[200:203]// 00000000C4A4: D3F300C8 1F23D54A
	v_mfma_f32_16x16x32_fp8_fp8 v[200:203], a[76:77], a[236:237], v[200:203]// 00000000C4AC: D3F300C8 1F23D94C
	v_mfma_f32_16x16x32_fp8_fp8 v[200:203], a[78:79], a[238:239], v[200:203]// 00000000C4B4: D3F300C8 1F23DD4E
	v_mfma_f32_16x16x32_fp8_fp8 v[204:207], a[72:73], a[248:249], 0// 00000000C4BC: D3F300CC 1A03F148
	v_mfma_f32_16x16x32_fp8_fp8 v[204:207], a[74:75], a[250:251], v[204:207]// 00000000C4C4: D3F300CC 1F33F54A
	v_mfma_f32_16x16x32_fp8_fp8 v[204:207], a[76:77], a[252:253], v[204:207]// 00000000C4CC: D3F300CC 1F33F94C
	v_mfma_f32_16x16x32_fp8_fp8 v[204:207], a[78:79], a[254:255], v[204:207]// 00000000C4D4: D3F300CC 1F33FD4E
	s_waitcnt vmcnt(13)                                        // 00000000C4DC: BF8C0F7D
	v_mfma_f32_16x16x32_fp8_fp8 v[208:211], a[88:89], a[200:201], 0// 00000000C4E0: D3F300D0 1A039158
	buffer_load_dwordx4 a[24:27], v48, s[24:27], 0 offen offset:2048// 00000000C4E8: E05C1800 80861830
	v_mfma_f32_16x16x32_fp8_fp8 v[208:211], a[90:91], a[202:203], v[208:211]// 00000000C4F0: D3F300D0 1F43955A
	v_mfma_f32_16x16x32_fp8_fp8 v[208:211], a[92:93], a[204:205], v[208:211]// 00000000C4F8: D3F300D0 1F43995C
	v_mfma_f32_16x16x32_fp8_fp8 v[208:211], a[94:95], a[206:207], v[208:211]// 00000000C500: D3F300D0 1F439D5E
	v_mfma_f32_16x16x32_fp8_fp8 v[212:215], a[88:89], a[216:217], 0// 00000000C508: D3F300D4 1A03B158
	v_mfma_f32_16x16x32_fp8_fp8 v[212:215], a[90:91], a[218:219], v[212:215]// 00000000C510: D3F300D4 1F53B55A
	v_mfma_f32_16x16x32_fp8_fp8 v[212:215], a[92:93], a[220:221], v[212:215]// 00000000C518: D3F300D4 1F53B95C
	v_mfma_f32_16x16x32_fp8_fp8 v[212:215], a[94:95], a[222:223], v[212:215]// 00000000C520: D3F300D4 1F53BD5E
	v_mfma_f32_16x16x32_fp8_fp8 v[216:219], a[88:89], a[232:233], 0// 00000000C528: D3F300D8 1A03D158
	buffer_load_dwordx4 a[28:31], v48, s[24:27], 0 offen offset:3072// 00000000C530: E05C1C00 80861C30
	v_mfma_f32_16x16x32_fp8_fp8 v[216:219], a[90:91], a[234:235], v[216:219]// 00000000C538: D3F300D8 1F63D55A
	v_mfma_f32_16x16x32_fp8_fp8 v[216:219], a[92:93], a[236:237], v[216:219]// 00000000C540: D3F300D8 1F63D95C
	v_mfma_f32_16x16x32_fp8_fp8 v[216:219], a[94:95], a[238:239], v[216:219]// 00000000C548: D3F300D8 1F63DD5E
	v_mfma_f32_16x16x32_fp8_fp8 v[220:223], a[88:89], a[248:249], 0// 00000000C550: D3F300DC 1A03F158
	v_mfma_f32_16x16x32_fp8_fp8 v[220:223], a[90:91], a[250:251], v[220:223]// 00000000C558: D3F300DC 1F73F55A
	v_mfma_f32_16x16x32_fp8_fp8 v[220:223], a[92:93], a[252:253], v[220:223]// 00000000C560: D3F300DC 1F73F95C
	v_mfma_f32_16x16x32_fp8_fp8 v[220:223], a[94:95], a[254:255], v[220:223]// 00000000C568: D3F300DC 1F73FD5E
	s_waitcnt vmcnt(13)                                        // 00000000C570: BF8C0F7D
	v_mfma_f32_16x16x32_fp8_fp8 v[224:227], a[104:105], a[200:201], 0// 00000000C574: D3F300E0 1A039168
	buffer_load_dwordx4 a[40:43], v49, s[24:27], 0 offen offset:2048// 00000000C57C: E05C1800 80862831
	v_mfma_f32_16x16x32_fp8_fp8 v[224:227], a[106:107], a[202:203], v[224:227]// 00000000C584: D3F300E0 1F83956A
	v_mfma_f32_16x16x32_fp8_fp8 v[224:227], a[108:109], a[204:205], v[224:227]// 00000000C58C: D3F300E0 1F83996C
	v_mfma_f32_16x16x32_fp8_fp8 v[224:227], a[110:111], a[206:207], v[224:227]// 00000000C594: D3F300E0 1F839D6E
	v_mfma_f32_16x16x32_fp8_fp8 v[228:231], a[104:105], a[216:217], 0// 00000000C59C: D3F300E4 1A03B168
	v_mfma_f32_16x16x32_fp8_fp8 v[228:231], a[106:107], a[218:219], v[228:231]// 00000000C5A4: D3F300E4 1F93B56A
	v_mfma_f32_16x16x32_fp8_fp8 v[228:231], a[108:109], a[220:221], v[228:231]// 00000000C5AC: D3F300E4 1F93B96C
	v_mfma_f32_16x16x32_fp8_fp8 v[228:231], a[110:111], a[222:223], v[228:231]// 00000000C5B4: D3F300E4 1F93BD6E
	v_mfma_f32_16x16x32_fp8_fp8 v[232:235], a[104:105], a[232:233], 0// 00000000C5BC: D3F300E8 1A03D168
	buffer_load_dwordx4 a[44:47], v49, s[24:27], 0 offen offset:3072// 00000000C5C4: E05C1C00 80862C31
	v_mfma_f32_16x16x32_fp8_fp8 v[232:235], a[106:107], a[234:235], v[232:235]// 00000000C5CC: D3F300E8 1FA3D56A
	v_mfma_f32_16x16x32_fp8_fp8 v[232:235], a[108:109], a[236:237], v[232:235]// 00000000C5D4: D3F300E8 1FA3D96C
	v_mfma_f32_16x16x32_fp8_fp8 v[232:235], a[110:111], a[238:239], v[232:235]// 00000000C5DC: D3F300E8 1FA3DD6E
	v_mfma_f32_16x16x32_fp8_fp8 v[236:239], a[104:105], a[248:249], 0// 00000000C5E4: D3F300EC 1A03F168
	v_mfma_f32_16x16x32_fp8_fp8 v[236:239], a[106:107], a[250:251], v[236:239]// 00000000C5EC: D3F300EC 1FB3F56A
	v_mfma_f32_16x16x32_fp8_fp8 v[236:239], a[108:109], a[252:253], v[236:239]// 00000000C5F4: D3F300EC 1FB3F96C
	v_mfma_f32_16x16x32_fp8_fp8 v[236:239], a[110:111], a[254:255], v[236:239]// 00000000C5FC: D3F300EC 1FB3FD6E
	s_waitcnt vmcnt(13)                                        // 00000000C604: BF8C0F7D
	v_mfma_f32_16x16x32_fp8_fp8 v[240:243], a[120:121], a[200:201], 0// 00000000C608: D3F300F0 1A039178
	buffer_load_dwordx4 a[56:59], v50, s[24:27], 0 offen offset:2048// 00000000C610: E05C1800 80863832
	v_mfma_f32_16x16x32_fp8_fp8 v[240:243], a[122:123], a[202:203], v[240:243]// 00000000C618: D3F300F0 1FC3957A
	v_mfma_f32_16x16x32_fp8_fp8 v[240:243], a[124:125], a[204:205], v[240:243]// 00000000C620: D3F300F0 1FC3997C
	v_mfma_f32_16x16x32_fp8_fp8 v[240:243], a[126:127], a[206:207], v[240:243]// 00000000C628: D3F300F0 1FC39D7E
	v_mfma_f32_16x16x32_fp8_fp8 v[244:247], a[120:121], a[216:217], 0// 00000000C630: D3F300F4 1A03B178
	v_mfma_f32_16x16x32_fp8_fp8 v[244:247], a[122:123], a[218:219], v[244:247]// 00000000C638: D3F300F4 1FD3B57A
	v_mfma_f32_16x16x32_fp8_fp8 v[244:247], a[124:125], a[220:221], v[244:247]// 00000000C640: D3F300F4 1FD3B97C
	v_mfma_f32_16x16x32_fp8_fp8 v[244:247], a[126:127], a[222:223], v[244:247]// 00000000C648: D3F300F4 1FD3BD7E
	v_mfma_f32_16x16x32_fp8_fp8 v[248:251], a[120:121], a[232:233], 0// 00000000C650: D3F300F8 1A03D178
	buffer_load_dwordx4 a[60:63], v50, s[24:27], 0 offen offset:3072// 00000000C658: E05C1C00 80863C32
	v_mfma_f32_16x16x32_fp8_fp8 v[248:251], a[122:123], a[234:235], v[248:251]// 00000000C660: D3F300F8 1FE3D57A
	v_mfma_f32_16x16x32_fp8_fp8 v[248:251], a[124:125], a[236:237], v[248:251]// 00000000C668: D3F300F8 1FE3D97C
	v_mfma_f32_16x16x32_fp8_fp8 v[248:251], a[126:127], a[238:239], v[248:251]// 00000000C670: D3F300F8 1FE3DD7E
	v_mfma_f32_16x16x32_fp8_fp8 v[252:255], a[120:121], a[248:249], 0// 00000000C678: D3F300FC 1A03F178
	v_mfma_f32_16x16x32_fp8_fp8 v[252:255], a[122:123], a[250:251], v[252:255]// 00000000C680: D3F300FC 1FF3F57A
	v_mfma_f32_16x16x32_fp8_fp8 v[252:255], a[124:125], a[252:253], v[252:255]// 00000000C688: D3F300FC 1FF3F97C
	v_mfma_f32_16x16x32_fp8_fp8 v[252:255], a[126:127], a[254:255], v[252:255]// 00000000C690: D3F300FC 1FF3FD7E
	v_mul_f32_dpp v60, v38, v33 row_newbcast:2 row_mask:0xf bank_mask:0xf// 00000000C698: 0A7842FA FF015226
	v_mov_b32_e32 v61, v60                                     // 00000000C6A0: 7E7A033C
	v_pk_fma_f32 v[128:129], v[192:193], v[60:61], v[128:129]  // 00000000C6A4: D3B04080 1E0279C0
	v_pk_fma_f32 v[130:131], v[194:195], v[60:61], v[130:131]  // 00000000C6AC: D3B04082 1E0A79C2
	v_pk_fma_f32 v[144:145], v[208:209], v[60:61], v[144:145]  // 00000000C6B4: D3B04090 1E4279D0
	v_pk_fma_f32 v[146:147], v[210:211], v[60:61], v[146:147]  // 00000000C6BC: D3B04092 1E4A79D2
	v_mul_f32_dpp v60, v38, v33 row_newbcast:3 row_mask:0xf bank_mask:0xf// 00000000C6C4: 0A7842FA FF015326
	v_mov_b32_e32 v61, v60                                     // 00000000C6CC: 7E7A033C
	v_pk_fma_f32 v[160:161], v[224:225], v[60:61], v[160:161]  // 00000000C6D0: D3B040A0 1E8279E0
	v_pk_fma_f32 v[162:163], v[226:227], v[60:61], v[162:163]  // 00000000C6D8: D3B040A2 1E8A79E2
	v_pk_fma_f32 v[176:177], v[240:241], v[60:61], v[176:177]  // 00000000C6E0: D3B040B0 1EC279F0
	v_pk_fma_f32 v[178:179], v[242:243], v[60:61], v[178:179]  // 00000000C6E8: D3B040B2 1ECA79F2
	v_mul_f32_dpp v60, v38, v34 row_newbcast:2 row_mask:0xf bank_mask:0xf// 00000000C6F0: 0A7844FA FF015226
	v_mov_b32_e32 v61, v60                                     // 00000000C6F8: 7E7A033C
	v_pk_fma_f32 v[132:133], v[196:197], v[60:61], v[132:133]  // 00000000C6FC: D3B04084 1E1279C4
	v_pk_fma_f32 v[134:135], v[198:199], v[60:61], v[134:135]  // 00000000C704: D3B04086 1E1A79C6
	v_pk_fma_f32 v[148:149], v[212:213], v[60:61], v[148:149]  // 00000000C70C: D3B04094 1E5279D4
	v_pk_fma_f32 v[150:151], v[214:215], v[60:61], v[150:151]  // 00000000C714: D3B04096 1E5A79D6
	v_mul_f32_dpp v60, v38, v34 row_newbcast:3 row_mask:0xf bank_mask:0xf// 00000000C71C: 0A7844FA FF015326
	v_mov_b32_e32 v61, v60                                     // 00000000C724: 7E7A033C
	v_pk_fma_f32 v[164:165], v[228:229], v[60:61], v[164:165]  // 00000000C728: D3B040A4 1E9279E4
	v_pk_fma_f32 v[166:167], v[230:231], v[60:61], v[166:167]  // 00000000C730: D3B040A6 1E9A79E6
	v_pk_fma_f32 v[180:181], v[244:245], v[60:61], v[180:181]  // 00000000C738: D3B040B4 1ED279F4
	v_pk_fma_f32 v[182:183], v[246:247], v[60:61], v[182:183]  // 00000000C740: D3B040B6 1EDA79F6
	v_mul_f32_dpp v60, v38, v35 row_newbcast:2 row_mask:0xf bank_mask:0xf// 00000000C748: 0A7846FA FF015226
	v_mov_b32_e32 v61, v60                                     // 00000000C750: 7E7A033C
	v_pk_fma_f32 v[136:137], v[200:201], v[60:61], v[136:137]  // 00000000C754: D3B04088 1E2279C8
	v_pk_fma_f32 v[138:139], v[202:203], v[60:61], v[138:139]  // 00000000C75C: D3B0408A 1E2A79CA
	v_pk_fma_f32 v[152:153], v[216:217], v[60:61], v[152:153]  // 00000000C764: D3B04098 1E6279D8
	v_pk_fma_f32 v[154:155], v[218:219], v[60:61], v[154:155]  // 00000000C76C: D3B0409A 1E6A79DA
	v_mul_f32_dpp v60, v38, v35 row_newbcast:3 row_mask:0xf bank_mask:0xf// 00000000C774: 0A7846FA FF015326
	v_mov_b32_e32 v61, v60                                     // 00000000C77C: 7E7A033C
	v_pk_fma_f32 v[168:169], v[232:233], v[60:61], v[168:169]  // 00000000C780: D3B040A8 1EA279E8
	v_pk_fma_f32 v[170:171], v[234:235], v[60:61], v[170:171]  // 00000000C788: D3B040AA 1EAA79EA
	v_pk_fma_f32 v[184:185], v[248:249], v[60:61], v[184:185]  // 00000000C790: D3B040B8 1EE279F8
	v_pk_fma_f32 v[186:187], v[250:251], v[60:61], v[186:187]  // 00000000C798: D3B040BA 1EEA79FA
	v_mul_f32_dpp v60, v38, v36 row_newbcast:2 row_mask:0xf bank_mask:0xf// 00000000C7A0: 0A7848FA FF015226
	v_mov_b32_e32 v61, v60                                     // 00000000C7A8: 7E7A033C
	v_pk_fma_f32 v[140:141], v[204:205], v[60:61], v[140:141]  // 00000000C7AC: D3B0408C 1E3279CC
	v_pk_fma_f32 v[142:143], v[206:207], v[60:61], v[142:143]  // 00000000C7B4: D3B0408E 1E3A79CE
	v_pk_fma_f32 v[156:157], v[220:221], v[60:61], v[156:157]  // 00000000C7BC: D3B0409C 1E7279DC
	v_pk_fma_f32 v[158:159], v[222:223], v[60:61], v[158:159]  // 00000000C7C4: D3B0409E 1E7A79DE
	v_mul_f32_dpp v60, v38, v36 row_newbcast:3 row_mask:0xf bank_mask:0xf// 00000000C7CC: 0A7848FA FF015326
	v_mov_b32_e32 v61, v60                                     // 00000000C7D4: 7E7A033C
	v_pk_fma_f32 v[172:173], v[236:237], v[60:61], v[172:173]  // 00000000C7D8: D3B040AC 1EB279EC
	v_pk_fma_f32 v[174:175], v[238:239], v[60:61], v[174:175]  // 00000000C7E0: D3B040AE 1EBA79EE
	v_pk_fma_f32 v[188:189], v[252:253], v[60:61], v[188:189]  // 00000000C7E8: D3B040BC 1EF279FC
	v_pk_fma_f32 v[190:191], v[254:255], v[60:61], v[190:191]  // 00000000C7F0: D3B040BE 1EFA79FE
	s_add_u32 s56, 0x200, s76                                  // 00000000C7F8: 80384CFF 00000200
	s_cmp_lt_u32 s56, s77                                      // 00000000C800: BF0A4D38
	s_cselect_b32 s53, s53, 0                                  // 00000000C804: 85358035
	s_cselect_b32 s3, s3, 0                                    // 00000000C808: 85038003
	s_add_u32 s56, 0x200, s76                                  // 00000000C80C: 80384CFF 00000200
	s_cmp_lt_u32 s56, s77                                      // 00000000C814: BF0A4D38
	s_cselect_b32 s54, s54, 0                                  // 00000000C818: 85368036
	s_add_u32 s20, s53, s20                                    // 00000000C81C: 80141435
	s_addc_u32 s21, 0, s21                                     // 00000000C820: 82151580
	s_add_u32 s28, s3, s28                                     // 00000000C824: 801C1C03
	s_addc_u32 s29, 0, s29                                     // 00000000C828: 821D1D80
	s_add_u32 s24, s54, s24                                    // 00000000C82C: 80181836
	s_addc_u32 s25, 0, s25                                     // 00000000C830: 82191980
	s_add_u32 s96, s94, s96                                    // 00000000C834: 8060605E
	s_addc_u32 s97, 0, s97                                     // 00000000C838: 82616180
	s_addk_i32 s76, 0x100                                      // 00000000C83C: B74C0100
	s_cmp_lt_i32 s76, s77                                      // 00000000C840: BF044D4C
	s_cbranch_scc0 label_2693                                  // 00000000C844: BF840001
	s_branch label_1DAA                                        // 00000000C848: BF82F717

000000000000c84c <label_2693>:
	s_mov_b32 s20, 0                                           // 00000000C84C: BE940080
	s_cmp_lt_u32 s93, s62                                      // 00000000C850: BF0A3E5D
	s_cselect_b32 s56, 0, 1                                    // 00000000C854: 85388180
	s_lshl1_add_u32 s20, s20, s56                              // 00000000C858: 97143814
	s_cmp_lt_u32 s92, s62                                      // 00000000C85C: BF0A3E5C
	s_cselect_b32 s56, 0, 1                                    // 00000000C860: 85388180
	s_lshl1_add_u32 s20, s20, s56                              // 00000000C864: 97143814
	s_cmp_lt_u32 s91, s62                                      // 00000000C868: BF0A3E5B
	s_cselect_b32 s56, 0, 1                                    // 00000000C86C: 85388180
	s_lshl1_add_u32 s20, s20, s56                              // 00000000C870: 97143814
	s_cmp_lt_u32 s90, s62                                      // 00000000C874: BF0A3E5A
	s_cselect_b32 s56, 0, 1                                    // 00000000C878: 85388180
	s_lshl1_add_u32 s20, s20, s56                              // 00000000C87C: 97143814
	s_cmp_lt_u32 s89, s62                                      // 00000000C880: BF0A3E59
	s_cselect_b32 s56, 0, 1                                    // 00000000C884: 85388180
	s_lshl1_add_u32 s20, s20, s56                              // 00000000C888: 97143814
	s_cmp_lt_u32 s88, s62                                      // 00000000C88C: BF0A3E58
	s_cselect_b32 s56, 0, 1                                    // 00000000C890: 85388180
	s_lshl1_add_u32 s20, s20, s56                              // 00000000C894: 97143814
	s_cmp_lt_u32 s87, s62                                      // 00000000C898: BF0A3E57
	s_cselect_b32 s56, 0, 1                                    // 00000000C89C: 85388180
	s_lshl1_add_u32 s20, s20, s56                              // 00000000C8A0: 97143814
	s_cmp_lt_u32 s86, s62                                      // 00000000C8A4: BF0A3E56
	s_cselect_b32 s56, 0, 1                                    // 00000000C8A8: 85388180
	s_lshl1_add_u32 s20, s20, s56                              // 00000000C8AC: 97143814
	s_cmp_lt_u32 s85, s62                                      // 00000000C8B0: BF0A3E55
	s_cselect_b32 s56, 0, 1                                    // 00000000C8B4: 85388180
	s_lshl1_add_u32 s20, s20, s56                              // 00000000C8B8: 97143814
	s_cmp_lt_u32 s84, s62                                      // 00000000C8BC: BF0A3E54
	s_cselect_b32 s56, 0, 1                                    // 00000000C8C0: 85388180
	s_lshl1_add_u32 s20, s20, s56                              // 00000000C8C4: 97143814
	s_cmp_lt_u32 s83, s62                                      // 00000000C8C8: BF0A3E53
	s_cselect_b32 s56, 0, 1                                    // 00000000C8CC: 85388180
	s_lshl1_add_u32 s20, s20, s56                              // 00000000C8D0: 97143814
	s_cmp_lt_u32 s82, s62                                      // 00000000C8D4: BF0A3E52
	s_cselect_b32 s56, 0, 1                                    // 00000000C8D8: 85388180
	s_lshl1_add_u32 s20, s20, s56                              // 00000000C8DC: 97143814
	s_cmp_lt_u32 s81, s62                                      // 00000000C8E0: BF0A3E51
	s_cselect_b32 s56, 0, 1                                    // 00000000C8E4: 85388180
	s_lshl1_add_u32 s20, s20, s56                              // 00000000C8E8: 97143814
	s_cmp_lt_u32 s80, s62                                      // 00000000C8EC: BF0A3E50
	s_cselect_b32 s56, 0, 1                                    // 00000000C8F0: 85388180
	s_lshl1_add_u32 s20, s20, s56                              // 00000000C8F4: 97143814
	s_cmp_lt_u32 s79, s62                                      // 00000000C8F8: BF0A3E4F
	s_cselect_b32 s56, 0, 1                                    // 00000000C8FC: 85388180
	s_lshl1_add_u32 s20, s20, s56                              // 00000000C900: 97143814
	s_cmp_lt_u32 s78, s62                                      // 00000000C904: BF0A3E4E
	s_cselect_b32 s56, 0, 1                                    // 00000000C908: 85388180
	s_lshl1_add_u32 s20, s20, s56                              // 00000000C90C: 97143814
	s_waitcnt vmcnt(12)                                        // 00000000C910: BF8C0F7C
	buffer_load_dwordx4 a[0:3], v51, s[12:15], 0 offen         // 00000000C914: E05C1000 80830033
	v_mul_f32_e32 v60, v64, v64                                // 00000000C91C: 0A788140
	v_mul_f32_e32 v61, v65, v65                                // 00000000C920: 0A7A8341
	v_mul_f32_e32 v62, v66, v66                                // 00000000C924: 0A7C8542
	v_mul_f32_e32 v63, v67, v67                                // 00000000C928: 0A7E8743
	s_mov_b32 s3, 0xbd92220c                                   // 00000000C92C: BE8300FF BD92220C
	v_fma_f32 v60, v60, s3, v1                                 // 00000000C934: D1CB003C 0404073C
	v_fma_f32 v61, v61, s3, v1                                 // 00000000C93C: D1CB003D 0404073D
	v_fma_f32 v62, v62, s3, v1                                 // 00000000C944: D1CB003E 0404073E
	v_fma_f32 v63, v63, s3, v1                                 // 00000000C94C: D1CB003F 0404073F
	v_mul_f32_e32 v60, v60, v64                                // 00000000C954: 0A78813C
	v_mul_f32_e32 v61, v61, v65                                // 00000000C958: 0A7A833D
	v_mul_f32_e32 v62, v62, v66                                // 00000000C95C: 0A7C853E
	v_mul_f32_e32 v63, v63, v67                                // 00000000C960: 0A7E873F
	v_mul_f32_e64 v60, v60, s6                                 // 00000000C964: D105003C 00000D3C
	v_mul_f32_e64 v61, v61, s6                                 // 00000000C96C: D105003D 00000D3D
	v_mul_f32_e64 v62, v62, s6                                 // 00000000C974: D105003E 00000D3E
	v_mul_f32_e64 v63, v63, s6                                 // 00000000C97C: D105003F 00000D3F
	v_exp_f32_e32 v60, v60                                     // 00000000C984: 7E78413C
	v_exp_f32_e32 v61, v61                                     // 00000000C988: 7E7A413D
	v_exp_f32_e32 v62, v62                                     // 00000000C98C: 7E7C413E
	v_exp_f32_e32 v63, v63                                     // 00000000C990: 7E7E413F
	buffer_load_dwordx4 a[4:7], v52, s[12:15], 0 offen         // 00000000C994: E05C1000 80830434
	v_add_f32_e64 v60, v60, 1.0                                // 00000000C99C: D101003C 0001E53C
	v_add_f32_e64 v61, v61, 1.0                                // 00000000C9A4: D101003D 0001E53D
	v_add_f32_e64 v62, v62, 1.0                                // 00000000C9AC: D101003E 0001E53E
	v_add_f32_e64 v63, v63, 1.0                                // 00000000C9B4: D101003F 0001E53F
	v_rcp_f32_e32 v60, v60                                     // 00000000C9BC: 7E78453C
	v_rcp_f32_e32 v61, v61                                     // 00000000C9C0: 7E7A453D
	v_rcp_f32_e32 v62, v62                                     // 00000000C9C4: 7E7C453E
	v_rcp_f32_e32 v63, v63                                     // 00000000C9C8: 7E7E453F
	v_mul_f32_e32 v64, v64, v60                                // 00000000C9CC: 0A807940
	v_mul_f32_e32 v65, v65, v61                                // 00000000C9D0: 0A827B41
	v_mul_f32_e32 v66, v66, v62                                // 00000000C9D4: 0A847D42
	v_mul_f32_e32 v67, v67, v63                                // 00000000C9D8: 0A867F43
	v_mul_f32_e32 v64, v64, v128                               // 00000000C9DC: 0A810140
	v_mul_f32_e32 v65, v65, v129                               // 00000000C9E0: 0A830341
	v_mul_f32_e32 v66, v66, v130                               // 00000000C9E4: 0A850542
	v_mul_f32_e32 v67, v67, v131                               // 00000000C9E8: 0A870743
	buffer_load_dwordx4 a[8:11], v53, s[12:15], 0 offen        // 00000000C9EC: E05C1000 80830835
	v_mul_f32_e32 v60, v68, v68                                // 00000000C9F4: 0A788944
	v_mul_f32_e32 v61, v69, v69                                // 00000000C9F8: 0A7A8B45
	v_mul_f32_e32 v62, v70, v70                                // 00000000C9FC: 0A7C8D46
	v_mul_f32_e32 v63, v71, v71                                // 00000000CA00: 0A7E8F47
	s_mov_b32 s3, 0xbd92220c                                   // 00000000CA04: BE8300FF BD92220C
	v_fma_f32 v60, v60, s3, v1                                 // 00000000CA0C: D1CB003C 0404073C
	v_fma_f32 v61, v61, s3, v1                                 // 00000000CA14: D1CB003D 0404073D
	v_fma_f32 v62, v62, s3, v1                                 // 00000000CA1C: D1CB003E 0404073E
	v_fma_f32 v63, v63, s3, v1                                 // 00000000CA24: D1CB003F 0404073F
	v_mul_f32_e32 v60, v60, v68                                // 00000000CA2C: 0A78893C
	v_mul_f32_e32 v61, v61, v69                                // 00000000CA30: 0A7A8B3D
	v_mul_f32_e32 v62, v62, v70                                // 00000000CA34: 0A7C8D3E
	v_mul_f32_e32 v63, v63, v71                                // 00000000CA38: 0A7E8F3F
	v_mul_f32_e64 v60, v60, s6                                 // 00000000CA3C: D105003C 00000D3C
	v_mul_f32_e64 v61, v61, s6                                 // 00000000CA44: D105003D 00000D3D
	v_mul_f32_e64 v62, v62, s6                                 // 00000000CA4C: D105003E 00000D3E
	v_mul_f32_e64 v63, v63, s6                                 // 00000000CA54: D105003F 00000D3F
	v_exp_f32_e32 v60, v60                                     // 00000000CA5C: 7E78413C
	v_exp_f32_e32 v61, v61                                     // 00000000CA60: 7E7A413D
	v_exp_f32_e32 v62, v62                                     // 00000000CA64: 7E7C413E
	v_exp_f32_e32 v63, v63                                     // 00000000CA68: 7E7E413F
	buffer_load_dwordx4 a[12:15], v54, s[12:15], 0 offen       // 00000000CA6C: E05C1000 80830C36
	s_add_u32 s12, s74, s12                                    // 00000000CA74: 800C0C4A
	s_addc_u32 s13, 0, s13                                     // 00000000CA78: 820D0D80
	v_add_f32_e64 v60, v60, 1.0                                // 00000000CA7C: D101003C 0001E53C
	v_add_f32_e64 v61, v61, 1.0                                // 00000000CA84: D101003D 0001E53D
	v_add_f32_e64 v62, v62, 1.0                                // 00000000CA8C: D101003E 0001E53E
	v_add_f32_e64 v63, v63, 1.0                                // 00000000CA94: D101003F 0001E53F
	v_rcp_f32_e32 v60, v60                                     // 00000000CA9C: 7E78453C
	v_rcp_f32_e32 v61, v61                                     // 00000000CAA0: 7E7A453D
	v_rcp_f32_e32 v62, v62                                     // 00000000CAA4: 7E7C453E
	v_rcp_f32_e32 v63, v63                                     // 00000000CAA8: 7E7E453F
	v_mul_f32_e32 v68, v68, v60                                // 00000000CAAC: 0A887944
	v_mul_f32_e32 v69, v69, v61                                // 00000000CAB0: 0A8A7B45
	v_mul_f32_e32 v70, v70, v62                                // 00000000CAB4: 0A8C7D46
	v_mul_f32_e32 v71, v71, v63                                // 00000000CAB8: 0A8E7F47
	v_mul_f32_e32 v68, v68, v132                               // 00000000CABC: 0A890944
	v_mul_f32_e32 v69, v69, v133                               // 00000000CAC0: 0A8B0B45
	v_mul_f32_e32 v70, v70, v134                               // 00000000CAC4: 0A8D0D46
	v_mul_f32_e32 v71, v71, v135                               // 00000000CAC8: 0A8F0F47
	s_waitcnt vmcnt(12)                                        // 00000000CACC: BF8C0F7C
	buffer_load_dwordx4 a[16:19], v51, s[12:15], 0 offen       // 00000000CAD0: E05C1000 80831033
	v_mul_f32_e32 v60, v72, v72                                // 00000000CAD8: 0A789148
	v_mul_f32_e32 v61, v73, v73                                // 00000000CADC: 0A7A9349
	v_mul_f32_e32 v62, v74, v74                                // 00000000CAE0: 0A7C954A
	v_mul_f32_e32 v63, v75, v75                                // 00000000CAE4: 0A7E974B
	s_mov_b32 s3, 0xbd92220c                                   // 00000000CAE8: BE8300FF BD92220C
	v_fma_f32 v60, v60, s3, v1                                 // 00000000CAF0: D1CB003C 0404073C
	v_fma_f32 v61, v61, s3, v1                                 // 00000000CAF8: D1CB003D 0404073D
	v_fma_f32 v62, v62, s3, v1                                 // 00000000CB00: D1CB003E 0404073E
	v_fma_f32 v63, v63, s3, v1                                 // 00000000CB08: D1CB003F 0404073F
	v_mul_f32_e32 v60, v60, v72                                // 00000000CB10: 0A78913C
	v_mul_f32_e32 v61, v61, v73                                // 00000000CB14: 0A7A933D
	v_mul_f32_e32 v62, v62, v74                                // 00000000CB18: 0A7C953E
	v_mul_f32_e32 v63, v63, v75                                // 00000000CB1C: 0A7E973F
	v_mul_f32_e64 v60, v60, s6                                 // 00000000CB20: D105003C 00000D3C
	v_mul_f32_e64 v61, v61, s6                                 // 00000000CB28: D105003D 00000D3D
	v_mul_f32_e64 v62, v62, s6                                 // 00000000CB30: D105003E 00000D3E
	v_mul_f32_e64 v63, v63, s6                                 // 00000000CB38: D105003F 00000D3F
	v_exp_f32_e32 v60, v60                                     // 00000000CB40: 7E78413C
	v_exp_f32_e32 v61, v61                                     // 00000000CB44: 7E7A413D
	v_exp_f32_e32 v62, v62                                     // 00000000CB48: 7E7C413E
	v_exp_f32_e32 v63, v63                                     // 00000000CB4C: 7E7E413F
	buffer_load_dwordx4 a[20:23], v52, s[12:15], 0 offen       // 00000000CB50: E05C1000 80831434
	v_add_f32_e64 v60, v60, 1.0                                // 00000000CB58: D101003C 0001E53C
	v_add_f32_e64 v61, v61, 1.0                                // 00000000CB60: D101003D 0001E53D
	v_add_f32_e64 v62, v62, 1.0                                // 00000000CB68: D101003E 0001E53E
	v_add_f32_e64 v63, v63, 1.0                                // 00000000CB70: D101003F 0001E53F
	v_rcp_f32_e32 v60, v60                                     // 00000000CB78: 7E78453C
	v_rcp_f32_e32 v61, v61                                     // 00000000CB7C: 7E7A453D
	v_rcp_f32_e32 v62, v62                                     // 00000000CB80: 7E7C453E
	v_rcp_f32_e32 v63, v63                                     // 00000000CB84: 7E7E453F
	v_mul_f32_e32 v72, v72, v60                                // 00000000CB88: 0A907948
	v_mul_f32_e32 v73, v73, v61                                // 00000000CB8C: 0A927B49
	v_mul_f32_e32 v74, v74, v62                                // 00000000CB90: 0A947D4A
	v_mul_f32_e32 v75, v75, v63                                // 00000000CB94: 0A967F4B
	v_mul_f32_e32 v72, v72, v136                               // 00000000CB98: 0A911148
	v_mul_f32_e32 v73, v73, v137                               // 00000000CB9C: 0A931349
	v_mul_f32_e32 v74, v74, v138                               // 00000000CBA0: 0A95154A
	v_mul_f32_e32 v75, v75, v139                               // 00000000CBA4: 0A97174B
	buffer_load_dwordx4 a[24:27], v53, s[12:15], 0 offen       // 00000000CBA8: E05C1000 80831835
	v_mul_f32_e32 v60, v76, v76                                // 00000000CBB0: 0A78994C
	v_mul_f32_e32 v61, v77, v77                                // 00000000CBB4: 0A7A9B4D
	v_mul_f32_e32 v62, v78, v78                                // 00000000CBB8: 0A7C9D4E
	v_mul_f32_e32 v63, v79, v79                                // 00000000CBBC: 0A7E9F4F
	s_mov_b32 s3, 0xbd92220c                                   // 00000000CBC0: BE8300FF BD92220C
	v_fma_f32 v60, v60, s3, v1                                 // 00000000CBC8: D1CB003C 0404073C
	v_fma_f32 v61, v61, s3, v1                                 // 00000000CBD0: D1CB003D 0404073D
	v_fma_f32 v62, v62, s3, v1                                 // 00000000CBD8: D1CB003E 0404073E
	v_fma_f32 v63, v63, s3, v1                                 // 00000000CBE0: D1CB003F 0404073F
	v_mul_f32_e32 v60, v60, v76                                // 00000000CBE8: 0A78993C
	v_mul_f32_e32 v61, v61, v77                                // 00000000CBEC: 0A7A9B3D
	v_mul_f32_e32 v62, v62, v78                                // 00000000CBF0: 0A7C9D3E
	v_mul_f32_e32 v63, v63, v79                                // 00000000CBF4: 0A7E9F3F
	v_mul_f32_e64 v60, v60, s6                                 // 00000000CBF8: D105003C 00000D3C
	v_mul_f32_e64 v61, v61, s6                                 // 00000000CC00: D105003D 00000D3D
	v_mul_f32_e64 v62, v62, s6                                 // 00000000CC08: D105003E 00000D3E
	v_mul_f32_e64 v63, v63, s6                                 // 00000000CC10: D105003F 00000D3F
	v_exp_f32_e32 v60, v60                                     // 00000000CC18: 7E78413C
	v_exp_f32_e32 v61, v61                                     // 00000000CC1C: 7E7A413D
	v_exp_f32_e32 v62, v62                                     // 00000000CC20: 7E7C413E
	v_exp_f32_e32 v63, v63                                     // 00000000CC24: 7E7E413F
	buffer_load_dwordx4 a[28:31], v54, s[12:15], 0 offen       // 00000000CC28: E05C1000 80831C36
	s_add_u32 s12, s74, s12                                    // 00000000CC30: 800C0C4A
	s_addc_u32 s13, 0, s13                                     // 00000000CC34: 820D0D80
	v_add_f32_e64 v60, v60, 1.0                                // 00000000CC38: D101003C 0001E53C
	v_add_f32_e64 v61, v61, 1.0                                // 00000000CC40: D101003D 0001E53D
	v_add_f32_e64 v62, v62, 1.0                                // 00000000CC48: D101003E 0001E53E
	v_add_f32_e64 v63, v63, 1.0                                // 00000000CC50: D101003F 0001E53F
	v_rcp_f32_e32 v60, v60                                     // 00000000CC58: 7E78453C
	v_rcp_f32_e32 v61, v61                                     // 00000000CC5C: 7E7A453D
	v_rcp_f32_e32 v62, v62                                     // 00000000CC60: 7E7C453E
	v_rcp_f32_e32 v63, v63                                     // 00000000CC64: 7E7E453F
	v_mul_f32_e32 v76, v76, v60                                // 00000000CC68: 0A98794C
	v_mul_f32_e32 v77, v77, v61                                // 00000000CC6C: 0A9A7B4D
	v_mul_f32_e32 v78, v78, v62                                // 00000000CC70: 0A9C7D4E
	v_mul_f32_e32 v79, v79, v63                                // 00000000CC74: 0A9E7F4F
	v_mul_f32_e32 v76, v76, v140                               // 00000000CC78: 0A99194C
	v_mul_f32_e32 v77, v77, v141                               // 00000000CC7C: 0A9B1B4D
	v_mul_f32_e32 v78, v78, v142                               // 00000000CC80: 0A9D1D4E
	v_mul_f32_e32 v79, v79, v143                               // 00000000CC84: 0A9F1F4F
	s_waitcnt vmcnt(12)                                        // 00000000CC88: BF8C0F7C
	buffer_load_dwordx4 a[32:35], v51, s[12:15], 0 offen       // 00000000CC8C: E05C1000 80832033
	v_mul_f32_e32 v60, v80, v80                                // 00000000CC94: 0A78A150
	v_mul_f32_e32 v61, v81, v81                                // 00000000CC98: 0A7AA351
	v_mul_f32_e32 v62, v82, v82                                // 00000000CC9C: 0A7CA552
	v_mul_f32_e32 v63, v83, v83                                // 00000000CCA0: 0A7EA753
	s_mov_b32 s3, 0xbd92220c                                   // 00000000CCA4: BE8300FF BD92220C
	v_fma_f32 v60, v60, s3, v1                                 // 00000000CCAC: D1CB003C 0404073C
	v_fma_f32 v61, v61, s3, v1                                 // 00000000CCB4: D1CB003D 0404073D
	v_fma_f32 v62, v62, s3, v1                                 // 00000000CCBC: D1CB003E 0404073E
	v_fma_f32 v63, v63, s3, v1                                 // 00000000CCC4: D1CB003F 0404073F
	v_mul_f32_e32 v60, v60, v80                                // 00000000CCCC: 0A78A13C
	v_mul_f32_e32 v61, v61, v81                                // 00000000CCD0: 0A7AA33D
	v_mul_f32_e32 v62, v62, v82                                // 00000000CCD4: 0A7CA53E
	v_mul_f32_e32 v63, v63, v83                                // 00000000CCD8: 0A7EA73F
	v_mul_f32_e64 v60, v60, s6                                 // 00000000CCDC: D105003C 00000D3C
	v_mul_f32_e64 v61, v61, s6                                 // 00000000CCE4: D105003D 00000D3D
	v_mul_f32_e64 v62, v62, s6                                 // 00000000CCEC: D105003E 00000D3E
	v_mul_f32_e64 v63, v63, s6                                 // 00000000CCF4: D105003F 00000D3F
	v_exp_f32_e32 v60, v60                                     // 00000000CCFC: 7E78413C
	v_exp_f32_e32 v61, v61                                     // 00000000CD00: 7E7A413D
	v_exp_f32_e32 v62, v62                                     // 00000000CD04: 7E7C413E
	v_exp_f32_e32 v63, v63                                     // 00000000CD08: 7E7E413F
	buffer_load_dwordx4 a[36:39], v52, s[12:15], 0 offen       // 00000000CD0C: E05C1000 80832434
	v_add_f32_e64 v60, v60, 1.0                                // 00000000CD14: D101003C 0001E53C
	v_add_f32_e64 v61, v61, 1.0                                // 00000000CD1C: D101003D 0001E53D
	v_add_f32_e64 v62, v62, 1.0                                // 00000000CD24: D101003E 0001E53E
	v_add_f32_e64 v63, v63, 1.0                                // 00000000CD2C: D101003F 0001E53F
	v_rcp_f32_e32 v60, v60                                     // 00000000CD34: 7E78453C
	v_rcp_f32_e32 v61, v61                                     // 00000000CD38: 7E7A453D
	v_rcp_f32_e32 v62, v62                                     // 00000000CD3C: 7E7C453E
	v_rcp_f32_e32 v63, v63                                     // 00000000CD40: 7E7E453F
	v_mul_f32_e32 v80, v80, v60                                // 00000000CD44: 0AA07950
	v_mul_f32_e32 v81, v81, v61                                // 00000000CD48: 0AA27B51
	v_mul_f32_e32 v82, v82, v62                                // 00000000CD4C: 0AA47D52
	v_mul_f32_e32 v83, v83, v63                                // 00000000CD50: 0AA67F53
	v_mul_f32_e32 v80, v80, v144                               // 00000000CD54: 0AA12150
	v_mul_f32_e32 v81, v81, v145                               // 00000000CD58: 0AA32351
	v_mul_f32_e32 v82, v82, v146                               // 00000000CD5C: 0AA52552
	v_mul_f32_e32 v83, v83, v147                               // 00000000CD60: 0AA72753
	buffer_load_dwordx4 a[40:43], v53, s[12:15], 0 offen       // 00000000CD64: E05C1000 80832835
	v_mul_f32_e32 v60, v84, v84                                // 00000000CD6C: 0A78A954
	v_mul_f32_e32 v61, v85, v85                                // 00000000CD70: 0A7AAB55
	v_mul_f32_e32 v62, v86, v86                                // 00000000CD74: 0A7CAD56
	v_mul_f32_e32 v63, v87, v87                                // 00000000CD78: 0A7EAF57
	s_mov_b32 s3, 0xbd92220c                                   // 00000000CD7C: BE8300FF BD92220C
	v_fma_f32 v60, v60, s3, v1                                 // 00000000CD84: D1CB003C 0404073C
	v_fma_f32 v61, v61, s3, v1                                 // 00000000CD8C: D1CB003D 0404073D
	v_fma_f32 v62, v62, s3, v1                                 // 00000000CD94: D1CB003E 0404073E
	v_fma_f32 v63, v63, s3, v1                                 // 00000000CD9C: D1CB003F 0404073F
	v_mul_f32_e32 v60, v60, v84                                // 00000000CDA4: 0A78A93C
	v_mul_f32_e32 v61, v61, v85                                // 00000000CDA8: 0A7AAB3D
	v_mul_f32_e32 v62, v62, v86                                // 00000000CDAC: 0A7CAD3E
	v_mul_f32_e32 v63, v63, v87                                // 00000000CDB0: 0A7EAF3F
	v_mul_f32_e64 v60, v60, s6                                 // 00000000CDB4: D105003C 00000D3C
	v_mul_f32_e64 v61, v61, s6                                 // 00000000CDBC: D105003D 00000D3D
	v_mul_f32_e64 v62, v62, s6                                 // 00000000CDC4: D105003E 00000D3E
	v_mul_f32_e64 v63, v63, s6                                 // 00000000CDCC: D105003F 00000D3F
	v_exp_f32_e32 v60, v60                                     // 00000000CDD4: 7E78413C
	v_exp_f32_e32 v61, v61                                     // 00000000CDD8: 7E7A413D
	v_exp_f32_e32 v62, v62                                     // 00000000CDDC: 7E7C413E
	v_exp_f32_e32 v63, v63                                     // 00000000CDE0: 7E7E413F
	buffer_load_dwordx4 a[44:47], v54, s[12:15], 0 offen       // 00000000CDE4: E05C1000 80832C36
	s_add_u32 s12, s74, s12                                    // 00000000CDEC: 800C0C4A
	s_addc_u32 s13, 0, s13                                     // 00000000CDF0: 820D0D80
	v_add_f32_e64 v60, v60, 1.0                                // 00000000CDF4: D101003C 0001E53C
	v_add_f32_e64 v61, v61, 1.0                                // 00000000CDFC: D101003D 0001E53D
	v_add_f32_e64 v62, v62, 1.0                                // 00000000CE04: D101003E 0001E53E
	v_add_f32_e64 v63, v63, 1.0                                // 00000000CE0C: D101003F 0001E53F
	v_rcp_f32_e32 v60, v60                                     // 00000000CE14: 7E78453C
	v_rcp_f32_e32 v61, v61                                     // 00000000CE18: 7E7A453D
	v_rcp_f32_e32 v62, v62                                     // 00000000CE1C: 7E7C453E
	v_rcp_f32_e32 v63, v63                                     // 00000000CE20: 7E7E453F
	v_mul_f32_e32 v84, v84, v60                                // 00000000CE24: 0AA87954
	v_mul_f32_e32 v85, v85, v61                                // 00000000CE28: 0AAA7B55
	v_mul_f32_e32 v86, v86, v62                                // 00000000CE2C: 0AAC7D56
	v_mul_f32_e32 v87, v87, v63                                // 00000000CE30: 0AAE7F57
	v_mul_f32_e32 v84, v84, v148                               // 00000000CE34: 0AA92954
	v_mul_f32_e32 v85, v85, v149                               // 00000000CE38: 0AAB2B55
	v_mul_f32_e32 v86, v86, v150                               // 00000000CE3C: 0AAD2D56
	v_mul_f32_e32 v87, v87, v151                               // 00000000CE40: 0AAF2F57
	s_waitcnt vmcnt(12)                                        // 00000000CE44: BF8C0F7C
	buffer_load_dwordx4 a[48:51], v51, s[12:15], 0 offen       // 00000000CE48: E05C1000 80833033
	v_mul_f32_e32 v60, v88, v88                                // 00000000CE50: 0A78B158
	v_mul_f32_e32 v61, v89, v89                                // 00000000CE54: 0A7AB359
	v_mul_f32_e32 v62, v90, v90                                // 00000000CE58: 0A7CB55A
	v_mul_f32_e32 v63, v91, v91                                // 00000000CE5C: 0A7EB75B
	s_mov_b32 s3, 0xbd92220c                                   // 00000000CE60: BE8300FF BD92220C
	v_fma_f32 v60, v60, s3, v1                                 // 00000000CE68: D1CB003C 0404073C
	v_fma_f32 v61, v61, s3, v1                                 // 00000000CE70: D1CB003D 0404073D
	v_fma_f32 v62, v62, s3, v1                                 // 00000000CE78: D1CB003E 0404073E
	v_fma_f32 v63, v63, s3, v1                                 // 00000000CE80: D1CB003F 0404073F
	v_mul_f32_e32 v60, v60, v88                                // 00000000CE88: 0A78B13C
	v_mul_f32_e32 v61, v61, v89                                // 00000000CE8C: 0A7AB33D
	v_mul_f32_e32 v62, v62, v90                                // 00000000CE90: 0A7CB53E
	v_mul_f32_e32 v63, v63, v91                                // 00000000CE94: 0A7EB73F
	v_mul_f32_e64 v60, v60, s6                                 // 00000000CE98: D105003C 00000D3C
	v_mul_f32_e64 v61, v61, s6                                 // 00000000CEA0: D105003D 00000D3D
	v_mul_f32_e64 v62, v62, s6                                 // 00000000CEA8: D105003E 00000D3E
	v_mul_f32_e64 v63, v63, s6                                 // 00000000CEB0: D105003F 00000D3F
	v_exp_f32_e32 v60, v60                                     // 00000000CEB8: 7E78413C
	v_exp_f32_e32 v61, v61                                     // 00000000CEBC: 7E7A413D
	v_exp_f32_e32 v62, v62                                     // 00000000CEC0: 7E7C413E
	v_exp_f32_e32 v63, v63                                     // 00000000CEC4: 7E7E413F
	buffer_load_dwordx4 a[52:55], v52, s[12:15], 0 offen       // 00000000CEC8: E05C1000 80833434
	v_add_f32_e64 v60, v60, 1.0                                // 00000000CED0: D101003C 0001E53C
	v_add_f32_e64 v61, v61, 1.0                                // 00000000CED8: D101003D 0001E53D
	v_add_f32_e64 v62, v62, 1.0                                // 00000000CEE0: D101003E 0001E53E
	v_add_f32_e64 v63, v63, 1.0                                // 00000000CEE8: D101003F 0001E53F
	v_rcp_f32_e32 v60, v60                                     // 00000000CEF0: 7E78453C
	v_rcp_f32_e32 v61, v61                                     // 00000000CEF4: 7E7A453D
	v_rcp_f32_e32 v62, v62                                     // 00000000CEF8: 7E7C453E
	v_rcp_f32_e32 v63, v63                                     // 00000000CEFC: 7E7E453F
	v_mul_f32_e32 v88, v88, v60                                // 00000000CF00: 0AB07958
	v_mul_f32_e32 v89, v89, v61                                // 00000000CF04: 0AB27B59
	v_mul_f32_e32 v90, v90, v62                                // 00000000CF08: 0AB47D5A
	v_mul_f32_e32 v91, v91, v63                                // 00000000CF0C: 0AB67F5B
	v_mul_f32_e32 v88, v88, v152                               // 00000000CF10: 0AB13158
	v_mul_f32_e32 v89, v89, v153                               // 00000000CF14: 0AB33359
	v_mul_f32_e32 v90, v90, v154                               // 00000000CF18: 0AB5355A
	v_mul_f32_e32 v91, v91, v155                               // 00000000CF1C: 0AB7375B
	buffer_load_dwordx4 a[56:59], v53, s[12:15], 0 offen       // 00000000CF20: E05C1000 80833835
	v_mul_f32_e32 v60, v92, v92                                // 00000000CF28: 0A78B95C
	v_mul_f32_e32 v61, v93, v93                                // 00000000CF2C: 0A7ABB5D
	v_mul_f32_e32 v62, v94, v94                                // 00000000CF30: 0A7CBD5E
	v_mul_f32_e32 v63, v95, v95                                // 00000000CF34: 0A7EBF5F
	s_mov_b32 s3, 0xbd92220c                                   // 00000000CF38: BE8300FF BD92220C
	v_fma_f32 v60, v60, s3, v1                                 // 00000000CF40: D1CB003C 0404073C
	v_fma_f32 v61, v61, s3, v1                                 // 00000000CF48: D1CB003D 0404073D
	v_fma_f32 v62, v62, s3, v1                                 // 00000000CF50: D1CB003E 0404073E
	v_fma_f32 v63, v63, s3, v1                                 // 00000000CF58: D1CB003F 0404073F
	v_mul_f32_e32 v60, v60, v92                                // 00000000CF60: 0A78B93C
	v_mul_f32_e32 v61, v61, v93                                // 00000000CF64: 0A7ABB3D
	v_mul_f32_e32 v62, v62, v94                                // 00000000CF68: 0A7CBD3E
	v_mul_f32_e32 v63, v63, v95                                // 00000000CF6C: 0A7EBF3F
	v_mul_f32_e64 v60, v60, s6                                 // 00000000CF70: D105003C 00000D3C
	v_mul_f32_e64 v61, v61, s6                                 // 00000000CF78: D105003D 00000D3D
	v_mul_f32_e64 v62, v62, s6                                 // 00000000CF80: D105003E 00000D3E
	v_mul_f32_e64 v63, v63, s6                                 // 00000000CF88: D105003F 00000D3F
	v_exp_f32_e32 v60, v60                                     // 00000000CF90: 7E78413C
	v_exp_f32_e32 v61, v61                                     // 00000000CF94: 7E7A413D
	v_exp_f32_e32 v62, v62                                     // 00000000CF98: 7E7C413E
	v_exp_f32_e32 v63, v63                                     // 00000000CF9C: 7E7E413F
	buffer_load_dwordx4 a[60:63], v54, s[12:15], 0 offen       // 00000000CFA0: E05C1000 80833C36
	v_add_f32_e64 v60, v60, 1.0                                // 00000000CFA8: D101003C 0001E53C
	v_add_f32_e64 v61, v61, 1.0                                // 00000000CFB0: D101003D 0001E53D
	v_add_f32_e64 v62, v62, 1.0                                // 00000000CFB8: D101003E 0001E53E
	v_add_f32_e64 v63, v63, 1.0                                // 00000000CFC0: D101003F 0001E53F
	v_rcp_f32_e32 v60, v60                                     // 00000000CFC8: 7E78453C
	v_rcp_f32_e32 v61, v61                                     // 00000000CFCC: 7E7A453D
	v_rcp_f32_e32 v62, v62                                     // 00000000CFD0: 7E7C453E
	v_rcp_f32_e32 v63, v63                                     // 00000000CFD4: 7E7E453F
	v_mul_f32_e32 v92, v92, v60                                // 00000000CFD8: 0AB8795C
	v_mul_f32_e32 v93, v93, v61                                // 00000000CFDC: 0ABA7B5D
	v_mul_f32_e32 v94, v94, v62                                // 00000000CFE0: 0ABC7D5E
	v_mul_f32_e32 v95, v95, v63                                // 00000000CFE4: 0ABE7F5F
	v_mul_f32_e32 v92, v92, v156                               // 00000000CFE8: 0AB9395C
	v_mul_f32_e32 v93, v93, v157                               // 00000000CFEC: 0ABB3B5D
	v_mul_f32_e32 v94, v94, v158                               // 00000000CFF0: 0ABD3D5E
	v_mul_f32_e32 v95, v95, v159                               // 00000000CFF4: 0ABF3F5F
	s_waitcnt vmcnt(12)                                        // 00000000CFF8: BF8C0F7C
	v_mul_f32_e32 v60, v96, v96                                // 00000000CFFC: 0A78C160
	v_mul_f32_e32 v61, v97, v97                                // 00000000D000: 0A7AC361
	v_mul_f32_e32 v62, v98, v98                                // 00000000D004: 0A7CC562
	v_mul_f32_e32 v63, v99, v99                                // 00000000D008: 0A7EC763
	s_mov_b32 s3, 0xbd92220c                                   // 00000000D00C: BE8300FF BD92220C
	v_fma_f32 v60, v60, s3, v1                                 // 00000000D014: D1CB003C 0404073C
	v_fma_f32 v61, v61, s3, v1                                 // 00000000D01C: D1CB003D 0404073D
	v_fma_f32 v62, v62, s3, v1                                 // 00000000D024: D1CB003E 0404073E
	v_fma_f32 v63, v63, s3, v1                                 // 00000000D02C: D1CB003F 0404073F
	v_mul_f32_e32 v60, v60, v96                                // 00000000D034: 0A78C13C
	v_mul_f32_e32 v61, v61, v97                                // 00000000D038: 0A7AC33D
	v_mul_f32_e32 v62, v62, v98                                // 00000000D03C: 0A7CC53E
	v_mul_f32_e32 v63, v63, v99                                // 00000000D040: 0A7EC73F
	v_mul_f32_e64 v60, v60, s6                                 // 00000000D044: D105003C 00000D3C
	v_mul_f32_e64 v61, v61, s6                                 // 00000000D04C: D105003D 00000D3D
	v_mul_f32_e64 v62, v62, s6                                 // 00000000D054: D105003E 00000D3E
	v_mul_f32_e64 v63, v63, s6                                 // 00000000D05C: D105003F 00000D3F
	v_exp_f32_e32 v60, v60                                     // 00000000D064: 7E78413C
	v_exp_f32_e32 v61, v61                                     // 00000000D068: 7E7A413D
	v_exp_f32_e32 v62, v62                                     // 00000000D06C: 7E7C413E
	v_exp_f32_e32 v63, v63                                     // 00000000D070: 7E7E413F
	v_add_f32_e64 v60, v60, 1.0                                // 00000000D074: D101003C 0001E53C
	v_add_f32_e64 v61, v61, 1.0                                // 00000000D07C: D101003D 0001E53D
	v_add_f32_e64 v62, v62, 1.0                                // 00000000D084: D101003E 0001E53E
	v_add_f32_e64 v63, v63, 1.0                                // 00000000D08C: D101003F 0001E53F
	v_rcp_f32_e32 v60, v60                                     // 00000000D094: 7E78453C
	v_rcp_f32_e32 v61, v61                                     // 00000000D098: 7E7A453D
	v_rcp_f32_e32 v62, v62                                     // 00000000D09C: 7E7C453E
	v_rcp_f32_e32 v63, v63                                     // 00000000D0A0: 7E7E453F
	v_mul_f32_e32 v96, v96, v60                                // 00000000D0A4: 0AC07960
	v_mul_f32_e32 v97, v97, v61                                // 00000000D0A8: 0AC27B61
	v_mul_f32_e32 v98, v98, v62                                // 00000000D0AC: 0AC47D62
	v_mul_f32_e32 v99, v99, v63                                // 00000000D0B0: 0AC67F63
	v_mul_f32_e32 v96, v96, v160                               // 00000000D0B4: 0AC14160
	v_mul_f32_e32 v97, v97, v161                               // 00000000D0B8: 0AC34361
	v_mul_f32_e32 v98, v98, v162                               // 00000000D0BC: 0AC54562
	v_mul_f32_e32 v99, v99, v163                               // 00000000D0C0: 0AC74763
	v_mul_f32_e32 v60, v100, v100                              // 00000000D0C4: 0A78C964
	v_mul_f32_e32 v61, v101, v101                              // 00000000D0C8: 0A7ACB65
	v_mul_f32_e32 v62, v102, v102                              // 00000000D0CC: 0A7CCD66
	v_mul_f32_e32 v63, v103, v103                              // 00000000D0D0: 0A7ECF67
	s_mov_b32 s3, 0xbd92220c                                   // 00000000D0D4: BE8300FF BD92220C
	v_fma_f32 v60, v60, s3, v1                                 // 00000000D0DC: D1CB003C 0404073C
	v_fma_f32 v61, v61, s3, v1                                 // 00000000D0E4: D1CB003D 0404073D
	v_fma_f32 v62, v62, s3, v1                                 // 00000000D0EC: D1CB003E 0404073E
	v_fma_f32 v63, v63, s3, v1                                 // 00000000D0F4: D1CB003F 0404073F
	v_mul_f32_e32 v60, v60, v100                               // 00000000D0FC: 0A78C93C
	v_mul_f32_e32 v61, v61, v101                               // 00000000D100: 0A7ACB3D
	v_mul_f32_e32 v62, v62, v102                               // 00000000D104: 0A7CCD3E
	v_mul_f32_e32 v63, v63, v103                               // 00000000D108: 0A7ECF3F
	v_mul_f32_e64 v60, v60, s6                                 // 00000000D10C: D105003C 00000D3C
	v_mul_f32_e64 v61, v61, s6                                 // 00000000D114: D105003D 00000D3D
	v_mul_f32_e64 v62, v62, s6                                 // 00000000D11C: D105003E 00000D3E
	v_mul_f32_e64 v63, v63, s6                                 // 00000000D124: D105003F 00000D3F
	v_exp_f32_e32 v60, v60                                     // 00000000D12C: 7E78413C
	v_exp_f32_e32 v61, v61                                     // 00000000D130: 7E7A413D
	v_exp_f32_e32 v62, v62                                     // 00000000D134: 7E7C413E
	v_exp_f32_e32 v63, v63                                     // 00000000D138: 7E7E413F
	v_add_f32_e64 v60, v60, 1.0                                // 00000000D13C: D101003C 0001E53C
	v_add_f32_e64 v61, v61, 1.0                                // 00000000D144: D101003D 0001E53D
	v_add_f32_e64 v62, v62, 1.0                                // 00000000D14C: D101003E 0001E53E
	v_add_f32_e64 v63, v63, 1.0                                // 00000000D154: D101003F 0001E53F
	v_rcp_f32_e32 v60, v60                                     // 00000000D15C: 7E78453C
	v_rcp_f32_e32 v61, v61                                     // 00000000D160: 7E7A453D
	v_rcp_f32_e32 v62, v62                                     // 00000000D164: 7E7C453E
	v_rcp_f32_e32 v63, v63                                     // 00000000D168: 7E7E453F
	v_mul_f32_e32 v100, v100, v60                              // 00000000D16C: 0AC87964
	v_mul_f32_e32 v101, v101, v61                              // 00000000D170: 0ACA7B65
	v_mul_f32_e32 v102, v102, v62                              // 00000000D174: 0ACC7D66
	v_mul_f32_e32 v103, v103, v63                              // 00000000D178: 0ACE7F67
	v_mul_f32_e32 v100, v100, v164                             // 00000000D17C: 0AC94964
	v_mul_f32_e32 v101, v101, v165                             // 00000000D180: 0ACB4B65
	v_mul_f32_e32 v102, v102, v166                             // 00000000D184: 0ACD4D66
	v_mul_f32_e32 v103, v103, v167                             // 00000000D188: 0ACF4F67
	s_waitcnt vmcnt(12)                                        // 00000000D18C: BF8C0F7C
	v_mul_f32_e32 v60, v104, v104                              // 00000000D190: 0A78D168
	v_mul_f32_e32 v61, v105, v105                              // 00000000D194: 0A7AD369
	v_mul_f32_e32 v62, v106, v106                              // 00000000D198: 0A7CD56A
	v_mul_f32_e32 v63, v107, v107                              // 00000000D19C: 0A7ED76B
	s_mov_b32 s3, 0xbd92220c                                   // 00000000D1A0: BE8300FF BD92220C
	v_fma_f32 v60, v60, s3, v1                                 // 00000000D1A8: D1CB003C 0404073C
	v_fma_f32 v61, v61, s3, v1                                 // 00000000D1B0: D1CB003D 0404073D
	v_fma_f32 v62, v62, s3, v1                                 // 00000000D1B8: D1CB003E 0404073E
	v_fma_f32 v63, v63, s3, v1                                 // 00000000D1C0: D1CB003F 0404073F
	v_mul_f32_e32 v60, v60, v104                               // 00000000D1C8: 0A78D13C
	v_mul_f32_e32 v61, v61, v105                               // 00000000D1CC: 0A7AD33D
	v_mul_f32_e32 v62, v62, v106                               // 00000000D1D0: 0A7CD53E
	v_mul_f32_e32 v63, v63, v107                               // 00000000D1D4: 0A7ED73F
	v_mul_f32_e64 v60, v60, s6                                 // 00000000D1D8: D105003C 00000D3C
	v_mul_f32_e64 v61, v61, s6                                 // 00000000D1E0: D105003D 00000D3D
	v_mul_f32_e64 v62, v62, s6                                 // 00000000D1E8: D105003E 00000D3E
	v_mul_f32_e64 v63, v63, s6                                 // 00000000D1F0: D105003F 00000D3F
	v_exp_f32_e32 v60, v60                                     // 00000000D1F8: 7E78413C
	v_exp_f32_e32 v61, v61                                     // 00000000D1FC: 7E7A413D
	v_exp_f32_e32 v62, v62                                     // 00000000D200: 7E7C413E
	v_exp_f32_e32 v63, v63                                     // 00000000D204: 7E7E413F
	v_add_f32_e64 v60, v60, 1.0                                // 00000000D208: D101003C 0001E53C
	v_add_f32_e64 v61, v61, 1.0                                // 00000000D210: D101003D 0001E53D
	v_add_f32_e64 v62, v62, 1.0                                // 00000000D218: D101003E 0001E53E
	v_add_f32_e64 v63, v63, 1.0                                // 00000000D220: D101003F 0001E53F
	v_rcp_f32_e32 v60, v60                                     // 00000000D228: 7E78453C
	v_rcp_f32_e32 v61, v61                                     // 00000000D22C: 7E7A453D
	v_rcp_f32_e32 v62, v62                                     // 00000000D230: 7E7C453E
	v_rcp_f32_e32 v63, v63                                     // 00000000D234: 7E7E453F
	v_mul_f32_e32 v104, v104, v60                              // 00000000D238: 0AD07968
	v_mul_f32_e32 v105, v105, v61                              // 00000000D23C: 0AD27B69
	v_mul_f32_e32 v106, v106, v62                              // 00000000D240: 0AD47D6A
	v_mul_f32_e32 v107, v107, v63                              // 00000000D244: 0AD67F6B
	v_mul_f32_e32 v104, v104, v168                             // 00000000D248: 0AD15168
	v_mul_f32_e32 v105, v105, v169                             // 00000000D24C: 0AD35369
	v_mul_f32_e32 v106, v106, v170                             // 00000000D250: 0AD5556A
	v_mul_f32_e32 v107, v107, v171                             // 00000000D254: 0AD7576B
	v_mul_f32_e32 v60, v108, v108                              // 00000000D258: 0A78D96C
	v_mul_f32_e32 v61, v109, v109                              // 00000000D25C: 0A7ADB6D
	v_mul_f32_e32 v62, v110, v110                              // 00000000D260: 0A7CDD6E
	v_mul_f32_e32 v63, v111, v111                              // 00000000D264: 0A7EDF6F
	s_mov_b32 s3, 0xbd92220c                                   // 00000000D268: BE8300FF BD92220C
	v_fma_f32 v60, v60, s3, v1                                 // 00000000D270: D1CB003C 0404073C
	v_fma_f32 v61, v61, s3, v1                                 // 00000000D278: D1CB003D 0404073D
	v_fma_f32 v62, v62, s3, v1                                 // 00000000D280: D1CB003E 0404073E
	v_fma_f32 v63, v63, s3, v1                                 // 00000000D288: D1CB003F 0404073F
	v_mul_f32_e32 v60, v60, v108                               // 00000000D290: 0A78D93C
	v_mul_f32_e32 v61, v61, v109                               // 00000000D294: 0A7ADB3D
	v_mul_f32_e32 v62, v62, v110                               // 00000000D298: 0A7CDD3E
	v_mul_f32_e32 v63, v63, v111                               // 00000000D29C: 0A7EDF3F
	v_mul_f32_e64 v60, v60, s6                                 // 00000000D2A0: D105003C 00000D3C
	v_mul_f32_e64 v61, v61, s6                                 // 00000000D2A8: D105003D 00000D3D
	v_mul_f32_e64 v62, v62, s6                                 // 00000000D2B0: D105003E 00000D3E
	v_mul_f32_e64 v63, v63, s6                                 // 00000000D2B8: D105003F 00000D3F
	v_exp_f32_e32 v60, v60                                     // 00000000D2C0: 7E78413C
	v_exp_f32_e32 v61, v61                                     // 00000000D2C4: 7E7A413D
	v_exp_f32_e32 v62, v62                                     // 00000000D2C8: 7E7C413E
	v_exp_f32_e32 v63, v63                                     // 00000000D2CC: 7E7E413F
	v_add_f32_e64 v60, v60, 1.0                                // 00000000D2D0: D101003C 0001E53C
	v_add_f32_e64 v61, v61, 1.0                                // 00000000D2D8: D101003D 0001E53D
	v_add_f32_e64 v62, v62, 1.0                                // 00000000D2E0: D101003E 0001E53E
	v_add_f32_e64 v63, v63, 1.0                                // 00000000D2E8: D101003F 0001E53F
	v_rcp_f32_e32 v60, v60                                     // 00000000D2F0: 7E78453C
	v_rcp_f32_e32 v61, v61                                     // 00000000D2F4: 7E7A453D
	v_rcp_f32_e32 v62, v62                                     // 00000000D2F8: 7E7C453E
	v_rcp_f32_e32 v63, v63                                     // 00000000D2FC: 7E7E453F
	v_mul_f32_e32 v108, v108, v60                              // 00000000D300: 0AD8796C
	v_mul_f32_e32 v109, v109, v61                              // 00000000D304: 0ADA7B6D
	v_mul_f32_e32 v110, v110, v62                              // 00000000D308: 0ADC7D6E
	v_mul_f32_e32 v111, v111, v63                              // 00000000D30C: 0ADE7F6F
	v_mul_f32_e32 v108, v108, v172                             // 00000000D310: 0AD9596C
	v_mul_f32_e32 v109, v109, v173                             // 00000000D314: 0ADB5B6D
	v_mul_f32_e32 v110, v110, v174                             // 00000000D318: 0ADD5D6E
	v_mul_f32_e32 v111, v111, v175                             // 00000000D31C: 0ADF5F6F
	s_waitcnt vmcnt(12)                                        // 00000000D320: BF8C0F7C
	v_mul_f32_e32 v60, v112, v112                              // 00000000D324: 0A78E170
	v_mul_f32_e32 v61, v113, v113                              // 00000000D328: 0A7AE371
	v_mul_f32_e32 v62, v114, v114                              // 00000000D32C: 0A7CE572
	v_mul_f32_e32 v63, v115, v115                              // 00000000D330: 0A7EE773
	s_mov_b32 s3, 0xbd92220c                                   // 00000000D334: BE8300FF BD92220C
	v_fma_f32 v60, v60, s3, v1                                 // 00000000D33C: D1CB003C 0404073C
	v_fma_f32 v61, v61, s3, v1                                 // 00000000D344: D1CB003D 0404073D
	v_fma_f32 v62, v62, s3, v1                                 // 00000000D34C: D1CB003E 0404073E
	v_fma_f32 v63, v63, s3, v1                                 // 00000000D354: D1CB003F 0404073F
	v_mul_f32_e32 v60, v60, v112                               // 00000000D35C: 0A78E13C
	v_mul_f32_e32 v61, v61, v113                               // 00000000D360: 0A7AE33D
	v_mul_f32_e32 v62, v62, v114                               // 00000000D364: 0A7CE53E
	v_mul_f32_e32 v63, v63, v115                               // 00000000D368: 0A7EE73F
	v_mul_f32_e64 v60, v60, s6                                 // 00000000D36C: D105003C 00000D3C
	v_mul_f32_e64 v61, v61, s6                                 // 00000000D374: D105003D 00000D3D
	v_mul_f32_e64 v62, v62, s6                                 // 00000000D37C: D105003E 00000D3E
	v_mul_f32_e64 v63, v63, s6                                 // 00000000D384: D105003F 00000D3F
	v_exp_f32_e32 v60, v60                                     // 00000000D38C: 7E78413C
	v_exp_f32_e32 v61, v61                                     // 00000000D390: 7E7A413D
	v_exp_f32_e32 v62, v62                                     // 00000000D394: 7E7C413E
	v_exp_f32_e32 v63, v63                                     // 00000000D398: 7E7E413F
	v_add_f32_e64 v60, v60, 1.0                                // 00000000D39C: D101003C 0001E53C
	v_add_f32_e64 v61, v61, 1.0                                // 00000000D3A4: D101003D 0001E53D
	v_add_f32_e64 v62, v62, 1.0                                // 00000000D3AC: D101003E 0001E53E
	v_add_f32_e64 v63, v63, 1.0                                // 00000000D3B4: D101003F 0001E53F
	v_rcp_f32_e32 v60, v60                                     // 00000000D3BC: 7E78453C
	v_rcp_f32_e32 v61, v61                                     // 00000000D3C0: 7E7A453D
	v_rcp_f32_e32 v62, v62                                     // 00000000D3C4: 7E7C453E
	v_rcp_f32_e32 v63, v63                                     // 00000000D3C8: 7E7E453F
	v_mul_f32_e32 v112, v112, v60                              // 00000000D3CC: 0AE07970
	v_mul_f32_e32 v113, v113, v61                              // 00000000D3D0: 0AE27B71
	v_mul_f32_e32 v114, v114, v62                              // 00000000D3D4: 0AE47D72
	v_mul_f32_e32 v115, v115, v63                              // 00000000D3D8: 0AE67F73
	v_mul_f32_e32 v112, v112, v176                             // 00000000D3DC: 0AE16170
	v_mul_f32_e32 v113, v113, v177                             // 00000000D3E0: 0AE36371
	v_mul_f32_e32 v114, v114, v178                             // 00000000D3E4: 0AE56572
	v_mul_f32_e32 v115, v115, v179                             // 00000000D3E8: 0AE76773
	v_mul_f32_e32 v60, v116, v116                              // 00000000D3EC: 0A78E974
	v_mul_f32_e32 v61, v117, v117                              // 00000000D3F0: 0A7AEB75
	v_mul_f32_e32 v62, v118, v118                              // 00000000D3F4: 0A7CED76
	v_mul_f32_e32 v63, v119, v119                              // 00000000D3F8: 0A7EEF77
	s_mov_b32 s3, 0xbd92220c                                   // 00000000D3FC: BE8300FF BD92220C
	v_fma_f32 v60, v60, s3, v1                                 // 00000000D404: D1CB003C 0404073C
	v_fma_f32 v61, v61, s3, v1                                 // 00000000D40C: D1CB003D 0404073D
	v_fma_f32 v62, v62, s3, v1                                 // 00000000D414: D1CB003E 0404073E
	v_fma_f32 v63, v63, s3, v1                                 // 00000000D41C: D1CB003F 0404073F
	v_mul_f32_e32 v60, v60, v116                               // 00000000D424: 0A78E93C
	v_mul_f32_e32 v61, v61, v117                               // 00000000D428: 0A7AEB3D
	v_mul_f32_e32 v62, v62, v118                               // 00000000D42C: 0A7CED3E
	v_mul_f32_e32 v63, v63, v119                               // 00000000D430: 0A7EEF3F
	v_mul_f32_e64 v60, v60, s6                                 // 00000000D434: D105003C 00000D3C
	v_mul_f32_e64 v61, v61, s6                                 // 00000000D43C: D105003D 00000D3D
	v_mul_f32_e64 v62, v62, s6                                 // 00000000D444: D105003E 00000D3E
	v_mul_f32_e64 v63, v63, s6                                 // 00000000D44C: D105003F 00000D3F
	v_exp_f32_e32 v60, v60                                     // 00000000D454: 7E78413C
	v_exp_f32_e32 v61, v61                                     // 00000000D458: 7E7A413D
	v_exp_f32_e32 v62, v62                                     // 00000000D45C: 7E7C413E
	v_exp_f32_e32 v63, v63                                     // 00000000D460: 7E7E413F
	v_add_f32_e64 v60, v60, 1.0                                // 00000000D464: D101003C 0001E53C
	v_add_f32_e64 v61, v61, 1.0                                // 00000000D46C: D101003D 0001E53D
	v_add_f32_e64 v62, v62, 1.0                                // 00000000D474: D101003E 0001E53E
	v_add_f32_e64 v63, v63, 1.0                                // 00000000D47C: D101003F 0001E53F
	v_rcp_f32_e32 v60, v60                                     // 00000000D484: 7E78453C
	v_rcp_f32_e32 v61, v61                                     // 00000000D488: 7E7A453D
	v_rcp_f32_e32 v62, v62                                     // 00000000D48C: 7E7C453E
	v_rcp_f32_e32 v63, v63                                     // 00000000D490: 7E7E453F
	v_mul_f32_e32 v116, v116, v60                              // 00000000D494: 0AE87974
	v_mul_f32_e32 v117, v117, v61                              // 00000000D498: 0AEA7B75
	v_mul_f32_e32 v118, v118, v62                              // 00000000D49C: 0AEC7D76
	v_mul_f32_e32 v119, v119, v63                              // 00000000D4A0: 0AEE7F77
	v_mul_f32_e32 v116, v116, v180                             // 00000000D4A4: 0AE96974
	v_mul_f32_e32 v117, v117, v181                             // 00000000D4A8: 0AEB6B75
	v_mul_f32_e32 v118, v118, v182                             // 00000000D4AC: 0AED6D76
	v_mul_f32_e32 v119, v119, v183                             // 00000000D4B0: 0AEF6F77
	s_waitcnt vmcnt(12)                                        // 00000000D4B4: BF8C0F7C
	v_mul_f32_e32 v60, v120, v120                              // 00000000D4B8: 0A78F178
	v_mul_f32_e32 v61, v121, v121                              // 00000000D4BC: 0A7AF379
	v_mul_f32_e32 v62, v122, v122                              // 00000000D4C0: 0A7CF57A
	v_mul_f32_e32 v63, v123, v123                              // 00000000D4C4: 0A7EF77B
	s_mov_b32 s3, 0xbd92220c                                   // 00000000D4C8: BE8300FF BD92220C
	v_fma_f32 v60, v60, s3, v1                                 // 00000000D4D0: D1CB003C 0404073C
	v_fma_f32 v61, v61, s3, v1                                 // 00000000D4D8: D1CB003D 0404073D
	v_fma_f32 v62, v62, s3, v1                                 // 00000000D4E0: D1CB003E 0404073E
	v_fma_f32 v63, v63, s3, v1                                 // 00000000D4E8: D1CB003F 0404073F
	v_mul_f32_e32 v60, v60, v120                               // 00000000D4F0: 0A78F13C
	v_mul_f32_e32 v61, v61, v121                               // 00000000D4F4: 0A7AF33D
	v_mul_f32_e32 v62, v62, v122                               // 00000000D4F8: 0A7CF53E
	v_mul_f32_e32 v63, v63, v123                               // 00000000D4FC: 0A7EF73F
	v_mul_f32_e64 v60, v60, s6                                 // 00000000D500: D105003C 00000D3C
	v_mul_f32_e64 v61, v61, s6                                 // 00000000D508: D105003D 00000D3D
	v_mul_f32_e64 v62, v62, s6                                 // 00000000D510: D105003E 00000D3E
	v_mul_f32_e64 v63, v63, s6                                 // 00000000D518: D105003F 00000D3F
	v_exp_f32_e32 v60, v60                                     // 00000000D520: 7E78413C
	v_exp_f32_e32 v61, v61                                     // 00000000D524: 7E7A413D
	v_exp_f32_e32 v62, v62                                     // 00000000D528: 7E7C413E
	v_exp_f32_e32 v63, v63                                     // 00000000D52C: 7E7E413F
	v_add_f32_e64 v60, v60, 1.0                                // 00000000D530: D101003C 0001E53C
	v_add_f32_e64 v61, v61, 1.0                                // 00000000D538: D101003D 0001E53D
	v_add_f32_e64 v62, v62, 1.0                                // 00000000D540: D101003E 0001E53E
	v_add_f32_e64 v63, v63, 1.0                                // 00000000D548: D101003F 0001E53F
	v_rcp_f32_e32 v60, v60                                     // 00000000D550: 7E78453C
	v_rcp_f32_e32 v61, v61                                     // 00000000D554: 7E7A453D
	v_rcp_f32_e32 v62, v62                                     // 00000000D558: 7E7C453E
	v_rcp_f32_e32 v63, v63                                     // 00000000D55C: 7E7E453F
	v_mul_f32_e32 v120, v120, v60                              // 00000000D560: 0AF07978
	v_mul_f32_e32 v121, v121, v61                              // 00000000D564: 0AF27B79
	v_mul_f32_e32 v122, v122, v62                              // 00000000D568: 0AF47D7A
	v_mul_f32_e32 v123, v123, v63                              // 00000000D56C: 0AF67F7B
	v_mul_f32_e32 v120, v120, v184                             // 00000000D570: 0AF17178
	v_mul_f32_e32 v121, v121, v185                             // 00000000D574: 0AF37379
	v_mul_f32_e32 v122, v122, v186                             // 00000000D578: 0AF5757A
	v_mul_f32_e32 v123, v123, v187                             // 00000000D57C: 0AF7777B
	v_mul_f32_e32 v60, v124, v124                              // 00000000D580: 0A78F97C
	v_mul_f32_e32 v61, v125, v125                              // 00000000D584: 0A7AFB7D
	v_mul_f32_e32 v62, v126, v126                              // 00000000D588: 0A7CFD7E
	v_mul_f32_e32 v63, v127, v127                              // 00000000D58C: 0A7EFF7F
	s_mov_b32 s3, 0xbd92220c                                   // 00000000D590: BE8300FF BD92220C
	v_fma_f32 v60, v60, s3, v1                                 // 00000000D598: D1CB003C 0404073C
	v_fma_f32 v61, v61, s3, v1                                 // 00000000D5A0: D1CB003D 0404073D
	v_fma_f32 v62, v62, s3, v1                                 // 00000000D5A8: D1CB003E 0404073E
	v_fma_f32 v63, v63, s3, v1                                 // 00000000D5B0: D1CB003F 0404073F
	v_mul_f32_e32 v60, v60, v124                               // 00000000D5B8: 0A78F93C
	v_mul_f32_e32 v61, v61, v125                               // 00000000D5BC: 0A7AFB3D
	v_mul_f32_e32 v62, v62, v126                               // 00000000D5C0: 0A7CFD3E
	v_mul_f32_e32 v63, v63, v127                               // 00000000D5C4: 0A7EFF3F
	v_mul_f32_e64 v60, v60, s6                                 // 00000000D5C8: D105003C 00000D3C
	v_mul_f32_e64 v61, v61, s6                                 // 00000000D5D0: D105003D 00000D3D
	v_mul_f32_e64 v62, v62, s6                                 // 00000000D5D8: D105003E 00000D3E
	v_mul_f32_e64 v63, v63, s6                                 // 00000000D5E0: D105003F 00000D3F
	v_exp_f32_e32 v60, v60                                     // 00000000D5E8: 7E78413C
	v_exp_f32_e32 v61, v61                                     // 00000000D5EC: 7E7A413D
	v_exp_f32_e32 v62, v62                                     // 00000000D5F0: 7E7C413E
	v_exp_f32_e32 v63, v63                                     // 00000000D5F4: 7E7E413F
	v_add_f32_e64 v60, v60, 1.0                                // 00000000D5F8: D101003C 0001E53C
	v_add_f32_e64 v61, v61, 1.0                                // 00000000D600: D101003D 0001E53D
	v_add_f32_e64 v62, v62, 1.0                                // 00000000D608: D101003E 0001E53E
	v_add_f32_e64 v63, v63, 1.0                                // 00000000D610: D101003F 0001E53F
	v_rcp_f32_e32 v60, v60                                     // 00000000D618: 7E78453C
	v_rcp_f32_e32 v61, v61                                     // 00000000D61C: 7E7A453D
	v_rcp_f32_e32 v62, v62                                     // 00000000D620: 7E7C453E
	v_rcp_f32_e32 v63, v63                                     // 00000000D624: 7E7E453F
	v_mul_f32_e32 v124, v124, v60                              // 00000000D628: 0AF8797C
	v_mul_f32_e32 v125, v125, v61                              // 00000000D62C: 0AFA7B7D
	v_mul_f32_e32 v126, v126, v62                              // 00000000D630: 0AFC7D7E
	v_mul_f32_e32 v127, v127, v63                              // 00000000D634: 0AFE7F7F
	v_mul_f32_e32 v124, v124, v188                             // 00000000D638: 0AF9797C
	v_mul_f32_e32 v125, v125, v189                             // 00000000D63C: 0AFB7B7D
	v_mul_f32_e32 v126, v126, v190                             // 00000000D640: 0AFD7D7E
	v_mul_f32_e32 v127, v127, v191                             // 00000000D644: 0AFF7F7F
	buffer_load_dword v37, v8, s[16:19], 0 offen               // 00000000D648: E0501000 80042508
	v_mov_b32_e32 v192, 0x358637bd                             // 00000000D650: 7F8002FF 358637BD
	v_mov_b32_e32 v193, 0x358637bd                             // 00000000D658: 7F8202FF 358637BD
	v_mov_b32_e32 v194, 0x358637bd                             // 00000000D660: 7F8402FF 358637BD
	v_mov_b32_e32 v195, 0x358637bd                             // 00000000D668: 7F8602FF 358637BD
	v_max3_f32 v192, |v64|, |v65|, v192                        // 00000000D670: D1D303C0 07028340
	v_max3_f32 v192, |v66|, |v67|, v192                        // 00000000D678: D1D303C0 07028742
	v_max3_f32 v193, |v68|, |v69|, v193                        // 00000000D680: D1D303C1 07068B44
	v_max3_f32 v193, |v70|, |v71|, v193                        // 00000000D688: D1D303C1 07068F46
	v_max3_f32 v194, |v72|, |v73|, v194                        // 00000000D690: D1D303C2 070A9348
	v_max3_f32 v194, |v74|, |v75|, v194                        // 00000000D698: D1D303C2 070A974A
	v_max3_f32 v195, |v76|, |v77|, v195                        // 00000000D6A0: D1D303C3 070E9B4C
	v_max3_f32 v195, |v78|, |v79|, v195                        // 00000000D6A8: D1D303C3 070E9F4E
	v_max3_f32 v192, |v80|, |v81|, v192                        // 00000000D6B0: D1D303C0 0702A350
	v_max3_f32 v192, |v82|, |v83|, v192                        // 00000000D6B8: D1D303C0 0702A752
	v_max3_f32 v193, |v84|, |v85|, v193                        // 00000000D6C0: D1D303C1 0706AB54
	v_max3_f32 v193, |v86|, |v87|, v193                        // 00000000D6C8: D1D303C1 0706AF56
	v_max3_f32 v194, |v88|, |v89|, v194                        // 00000000D6D0: D1D303C2 070AB358
	v_max3_f32 v194, |v90|, |v91|, v194                        // 00000000D6D8: D1D303C2 070AB75A
	v_max3_f32 v195, |v92|, |v93|, v195                        // 00000000D6E0: D1D303C3 070EBB5C
	v_max3_f32 v195, |v94|, |v95|, v195                        // 00000000D6E8: D1D303C3 070EBF5E
	v_xor_b32_e32 v60, 32, v0                                  // 00000000D6F0: 2A7800A0
	v_lshlrev_b32_e32 v60, 2, v60                              // 00000000D6F4: 24787882
	s_nop 1                                                    // 00000000D6F8: BF800001
	ds_bpermute_b32 v60, v60, v192                             // 00000000D6FC: D87E0000 3C00C03C
	s_waitcnt lgkmcnt(0)                                       // 00000000D704: BF8CC07F
	v_max_f32_e32 v192, v60, v192                              // 00000000D708: 1781813C
	v_xor_b32_e32 v60, 16, v0                                  // 00000000D70C: 2A780090
	v_lshlrev_b32_e32 v60, 2, v60                              // 00000000D710: 24787882
	s_nop 1                                                    // 00000000D714: BF800001
	ds_bpermute_b32 v60, v60, v192                             // 00000000D718: D87E0000 3C00C03C
	s_waitcnt lgkmcnt(0)                                       // 00000000D720: BF8CC07F
	v_max_f32_e32 v192, v60, v192                              // 00000000D724: 1781813C
	v_xor_b32_e32 v60, 32, v0                                  // 00000000D728: 2A7800A0
	v_lshlrev_b32_e32 v60, 2, v60                              // 00000000D72C: 24787882
	s_nop 1                                                    // 00000000D730: BF800001
	ds_bpermute_b32 v60, v60, v193                             // 00000000D734: D87E0000 3C00C13C
	s_waitcnt lgkmcnt(0)                                       // 00000000D73C: BF8CC07F
	v_max_f32_e32 v193, v60, v193                              // 00000000D740: 1783833C
	v_xor_b32_e32 v60, 16, v0                                  // 00000000D744: 2A780090
	v_lshlrev_b32_e32 v60, 2, v60                              // 00000000D748: 24787882
	s_nop 1                                                    // 00000000D74C: BF800001
	ds_bpermute_b32 v60, v60, v193                             // 00000000D750: D87E0000 3C00C13C
	s_waitcnt lgkmcnt(0)                                       // 00000000D758: BF8CC07F
	v_max_f32_e32 v193, v60, v193                              // 00000000D75C: 1783833C
	v_xor_b32_e32 v60, 32, v0                                  // 00000000D760: 2A7800A0
	v_lshlrev_b32_e32 v60, 2, v60                              // 00000000D764: 24787882
	s_nop 1                                                    // 00000000D768: BF800001
	ds_bpermute_b32 v60, v60, v194                             // 00000000D76C: D87E0000 3C00C23C
	s_waitcnt lgkmcnt(0)                                       // 00000000D774: BF8CC07F
	v_max_f32_e32 v194, v60, v194                              // 00000000D778: 1785853C
	v_xor_b32_e32 v60, 16, v0                                  // 00000000D77C: 2A780090
	v_lshlrev_b32_e32 v60, 2, v60                              // 00000000D780: 24787882
	s_nop 1                                                    // 00000000D784: BF800001
	ds_bpermute_b32 v60, v60, v194                             // 00000000D788: D87E0000 3C00C23C
	s_waitcnt lgkmcnt(0)                                       // 00000000D790: BF8CC07F
	v_max_f32_e32 v194, v60, v194                              // 00000000D794: 1785853C
	v_xor_b32_e32 v60, 32, v0                                  // 00000000D798: 2A7800A0
	v_lshlrev_b32_e32 v60, 2, v60                              // 00000000D79C: 24787882
	s_nop 1                                                    // 00000000D7A0: BF800001
	ds_bpermute_b32 v60, v60, v195                             // 00000000D7A4: D87E0000 3C00C33C
	s_waitcnt lgkmcnt(0)                                       // 00000000D7AC: BF8CC07F
	v_max_f32_e32 v195, v60, v195                              // 00000000D7B0: 1787873C
	v_xor_b32_e32 v60, 16, v0                                  // 00000000D7B4: 2A780090
	v_lshlrev_b32_e32 v60, 2, v60                              // 00000000D7B8: 24787882
	s_nop 1                                                    // 00000000D7BC: BF800001
	ds_bpermute_b32 v60, v60, v195                             // 00000000D7C0: D87E0000 3C00C33C
	s_waitcnt lgkmcnt(0)                                       // 00000000D7C8: BF8CC07F
	v_max_f32_e32 v195, v60, v195                              // 00000000D7CC: 1787873C
	v_lshlrev_b32_e32 v60, 2, v0                               // 00000000D7D0: 24780082
	s_mul_i32 s56, 64, s7                                      // 00000000D7D4: 923807C0
	v_add_u32_e32 v60, s56, v60                                // 00000000D7D8: 68787838
	s_mov_b32 s56, 0xffff                                      // 00000000D7DC: BEB800FF 0000FFFF
	s_mov_b32 s57, 0                                           // 00000000D7E4: BEB90080
	s_mov_b64 exec, s[56:57]                                   // 00000000D7E8: BEFE0138
	ds_write_b32 v60, v192 offset:37120                        // 00000000D7EC: D81A9100 0000C03C
	ds_write_b32 v60, v193 offset:37376                        // 00000000D7F4: D81A9200 0000C13C
	ds_write_b32 v60, v194 offset:37632                        // 00000000D7FC: D81A9300 0000C23C
	ds_write_b32 v60, v195 offset:37888                        // 00000000D804: D81A9400 0000C33C
	s_mov_b32 s56, -1                                          // 00000000D80C: BEB800C1
	s_mov_b32 s57, -1                                          // 00000000D810: BEB900C1
	s_mov_b64 exec, s[56:57]                                   // 00000000D814: BEFE0138
	s_waitcnt lgkmcnt(0)                                       // 00000000D818: BF8CC07F
	s_barrier                                                  // 00000000D81C: BF8A0000
	v_lshlrev_b32_e32 v60, 2, v0                               // 00000000D820: 24780082
	ds_read_b32 v252, v60 offset:37120                         // 00000000D824: D86C9100 FC00003C
	ds_read_b32 v253, v60 offset:37376                         // 00000000D82C: D86C9200 FD00003C
	ds_read_b32 v254, v60 offset:37632                         // 00000000D834: D86C9300 FE00003C
	ds_read_b32 v255, v60 offset:37888                         // 00000000D83C: D86C9400 FF00003C
	s_waitcnt lgkmcnt(0)                                       // 00000000D844: BF8CC07F
	v_xor_b32_e32 v60, 32, v0                                  // 00000000D848: 2A7800A0
	v_lshlrev_b32_e32 v60, 2, v60                              // 00000000D84C: 24787882
	s_nop 1                                                    // 00000000D850: BF800001
	ds_bpermute_b32 v60, v60, v252                             // 00000000D854: D87E0000 3C00FC3C
	s_waitcnt lgkmcnt(0)                                       // 00000000D85C: BF8CC07F
	v_max_f32_e32 v252, v60, v252                              // 00000000D860: 17F9F93C
	v_xor_b32_e32 v60, 16, v0                                  // 00000000D864: 2A780090
	v_lshlrev_b32_e32 v60, 2, v60                              // 00000000D868: 24787882
	s_nop 1                                                    // 00000000D86C: BF800001
	ds_bpermute_b32 v60, v60, v252                             // 00000000D870: D87E0000 3C00FC3C
	s_waitcnt lgkmcnt(0)                                       // 00000000D878: BF8CC07F
	v_max_f32_e32 v252, v60, v252                              // 00000000D87C: 17F9F93C
	v_xor_b32_e32 v60, 32, v0                                  // 00000000D880: 2A7800A0
	v_lshlrev_b32_e32 v60, 2, v60                              // 00000000D884: 24787882
	s_nop 1                                                    // 00000000D888: BF800001
	ds_bpermute_b32 v60, v60, v253                             // 00000000D88C: D87E0000 3C00FD3C
	s_waitcnt lgkmcnt(0)                                       // 00000000D894: BF8CC07F
	v_max_f32_e32 v253, v60, v253                              // 00000000D898: 17FBFB3C
	v_xor_b32_e32 v60, 16, v0                                  // 00000000D89C: 2A780090
	v_lshlrev_b32_e32 v60, 2, v60                              // 00000000D8A0: 24787882
	s_nop 1                                                    // 00000000D8A4: BF800001
	ds_bpermute_b32 v60, v60, v253                             // 00000000D8A8: D87E0000 3C00FD3C
	s_waitcnt lgkmcnt(0)                                       // 00000000D8B0: BF8CC07F
	v_max_f32_e32 v253, v60, v253                              // 00000000D8B4: 17FBFB3C
	v_xor_b32_e32 v60, 32, v0                                  // 00000000D8B8: 2A7800A0
	v_lshlrev_b32_e32 v60, 2, v60                              // 00000000D8BC: 24787882
	s_nop 1                                                    // 00000000D8C0: BF800001
	ds_bpermute_b32 v60, v60, v254                             // 00000000D8C4: D87E0000 3C00FE3C
	s_waitcnt lgkmcnt(0)                                       // 00000000D8CC: BF8CC07F
	v_max_f32_e32 v254, v60, v254                              // 00000000D8D0: 17FDFD3C
	v_xor_b32_e32 v60, 16, v0                                  // 00000000D8D4: 2A780090
	v_lshlrev_b32_e32 v60, 2, v60                              // 00000000D8D8: 24787882
	s_nop 1                                                    // 00000000D8DC: BF800001
	ds_bpermute_b32 v60, v60, v254                             // 00000000D8E0: D87E0000 3C00FE3C
	s_waitcnt lgkmcnt(0)                                       // 00000000D8E8: BF8CC07F
	v_max_f32_e32 v254, v60, v254                              // 00000000D8EC: 17FDFD3C
	v_xor_b32_e32 v60, 32, v0                                  // 00000000D8F0: 2A7800A0
	v_lshlrev_b32_e32 v60, 2, v60                              // 00000000D8F4: 24787882
	s_nop 1                                                    // 00000000D8F8: BF800001
	ds_bpermute_b32 v60, v60, v255                             // 00000000D8FC: D87E0000 3C00FF3C
	s_waitcnt lgkmcnt(0)                                       // 00000000D904: BF8CC07F
	v_max_f32_e32 v255, v60, v255                              // 00000000D908: 17FFFF3C
	v_xor_b32_e32 v60, 16, v0                                  // 00000000D90C: 2A780090
	v_lshlrev_b32_e32 v60, 2, v60                              // 00000000D910: 24787882
	s_nop 1                                                    // 00000000D914: BF800001
	ds_bpermute_b32 v60, v60, v255                             // 00000000D918: D87E0000 3C00FF3C
	s_waitcnt lgkmcnt(0)                                       // 00000000D920: BF8CC07F
	v_max_f32_e32 v255, v60, v255                              // 00000000D924: 17FFFF3C
	v_max_f32_e32 v192, v252, v192                             // 00000000D928: 178181FC
	v_max_f32_e32 v193, v253, v193                             // 00000000D92C: 178383FD
	v_max_f32_e32 v194, v254, v194                             // 00000000D930: 178585FE
	v_max_f32_e32 v195, v255, v195                             // 00000000D934: 178787FF
	v_rcp_f32_e32 v192, v192                                   // 00000000D938: 7F8045C0
	v_rcp_f32_e32 v193, v193                                   // 00000000D93C: 7F8245C1
	v_rcp_f32_e32 v194, v194                                   // 00000000D940: 7F8445C2
	v_rcp_f32_e32 v195, v195                                   // 00000000D944: 7F8645C3
	v_mov_b32_e32 v60, 0x43700000                              // 00000000D948: 7E7802FF 43700000
	v_mul_f32_e32 v192, v60, v192                              // 00000000D950: 0B81813C
	v_mul_f32_e32 v193, v60, v193                              // 00000000D954: 0B83833C
	v_mul_f32_e32 v194, v60, v194                              // 00000000D958: 0B85853C
	v_mul_f32_e32 v195, v60, v195                              // 00000000D95C: 0B87873C
	v_mul_f32_e32 v64, v192, v64                               // 00000000D960: 0A8081C0
	v_mul_f32_e32 v65, v192, v65                               // 00000000D964: 0A8283C0
	v_mul_f32_e32 v66, v192, v66                               // 00000000D968: 0A8485C0
	v_mul_f32_e32 v67, v192, v67                               // 00000000D96C: 0A8687C0
	v_cvt_pk_fp8_f32 v64, v64, v65                             // 00000000D970: D2A20040 00028340
	v_cvt_pk_fp8_f32 v64, v66, v67 op_sel:[0,0,1]              // 00000000D978: D2A24040 00028742
	v_mul_f32_e32 v68, v193, v68                               // 00000000D980: 0A8889C1
	v_mul_f32_e32 v69, v193, v69                               // 00000000D984: 0A8A8BC1
	v_mul_f32_e32 v70, v193, v70                               // 00000000D988: 0A8C8DC1
	v_mul_f32_e32 v71, v193, v71                               // 00000000D98C: 0A8E8FC1
	v_cvt_pk_fp8_f32 v65, v68, v69                             // 00000000D990: D2A20041 00028B44
	v_cvt_pk_fp8_f32 v65, v70, v71 op_sel:[0,0,1]              // 00000000D998: D2A24041 00028F46
	v_mul_f32_e32 v72, v194, v72                               // 00000000D9A0: 0A9091C2
	v_mul_f32_e32 v73, v194, v73                               // 00000000D9A4: 0A9293C2
	v_mul_f32_e32 v74, v194, v74                               // 00000000D9A8: 0A9495C2
	v_mul_f32_e32 v75, v194, v75                               // 00000000D9AC: 0A9697C2
	v_cvt_pk_fp8_f32 v66, v72, v73                             // 00000000D9B0: D2A20042 00029348
	v_cvt_pk_fp8_f32 v66, v74, v75 op_sel:[0,0,1]              // 00000000D9B8: D2A24042 0002974A
	v_mul_f32_e32 v76, v195, v76                               // 00000000D9C0: 0A9899C3
	v_mul_f32_e32 v77, v195, v77                               // 00000000D9C4: 0A9A9BC3
	v_mul_f32_e32 v78, v195, v78                               // 00000000D9C8: 0A9C9DC3
	v_mul_f32_e32 v79, v195, v79                               // 00000000D9CC: 0A9E9FC3
	v_cvt_pk_fp8_f32 v67, v76, v77                             // 00000000D9D0: D2A20043 00029B4C
	v_cvt_pk_fp8_f32 v67, v78, v79 op_sel:[0,0,1]              // 00000000D9D8: D2A24043 00029F4E
	v_mul_f32_e32 v80, v192, v80                               // 00000000D9E0: 0AA0A1C0
	v_mul_f32_e32 v81, v192, v81                               // 00000000D9E4: 0AA2A3C0
	v_mul_f32_e32 v82, v192, v82                               // 00000000D9E8: 0AA4A5C0
	v_mul_f32_e32 v83, v192, v83                               // 00000000D9EC: 0AA6A7C0
	v_cvt_pk_fp8_f32 v68, v80, v81                             // 00000000D9F0: D2A20044 0002A350
	v_cvt_pk_fp8_f32 v68, v82, v83 op_sel:[0,0,1]              // 00000000D9F8: D2A24044 0002A752
	v_mul_f32_e32 v84, v193, v84                               // 00000000DA00: 0AA8A9C1
	v_mul_f32_e32 v85, v193, v85                               // 00000000DA04: 0AAAABC1
	v_mul_f32_e32 v86, v193, v86                               // 00000000DA08: 0AACADC1
	v_mul_f32_e32 v87, v193, v87                               // 00000000DA0C: 0AAEAFC1
	v_cvt_pk_fp8_f32 v69, v84, v85                             // 00000000DA10: D2A20045 0002AB54
	v_cvt_pk_fp8_f32 v69, v86, v87 op_sel:[0,0,1]              // 00000000DA18: D2A24045 0002AF56
	v_mul_f32_e32 v88, v194, v88                               // 00000000DA20: 0AB0B1C2
	v_mul_f32_e32 v89, v194, v89                               // 00000000DA24: 0AB2B3C2
	v_mul_f32_e32 v90, v194, v90                               // 00000000DA28: 0AB4B5C2
	v_mul_f32_e32 v91, v194, v91                               // 00000000DA2C: 0AB6B7C2
	v_cvt_pk_fp8_f32 v70, v88, v89                             // 00000000DA30: D2A20046 0002B358
	v_cvt_pk_fp8_f32 v70, v90, v91 op_sel:[0,0,1]              // 00000000DA38: D2A24046 0002B75A
	v_mul_f32_e32 v92, v195, v92                               // 00000000DA40: 0AB8B9C3
	v_mul_f32_e32 v93, v195, v93                               // 00000000DA44: 0ABABBC3
	v_mul_f32_e32 v94, v195, v94                               // 00000000DA48: 0ABCBDC3
	v_mul_f32_e32 v95, v195, v95                               // 00000000DA4C: 0ABEBFC3
	v_cvt_pk_fp8_f32 v71, v92, v93                             // 00000000DA50: D2A20047 0002BB5C
	v_cvt_pk_fp8_f32 v71, v94, v95 op_sel:[0,0,1]              // 00000000DA58: D2A24047 0002BF5E
	v_rcp_f32_e32 v21, v192                                    // 00000000DA60: 7E2A45C0
	v_rcp_f32_e32 v22, v193                                    // 00000000DA64: 7E2C45C1
	v_rcp_f32_e32 v23, v194                                    // 00000000DA68: 7E2E45C2
	v_rcp_f32_e32 v24, v195                                    // 00000000DA6C: 7E3045C3
	v_mov_b32_e32 v196, 0x358637bd                             // 00000000DA70: 7F8802FF 358637BD
	v_mov_b32_e32 v197, 0x358637bd                             // 00000000DA78: 7F8A02FF 358637BD
	v_mov_b32_e32 v198, 0x358637bd                             // 00000000DA80: 7F8C02FF 358637BD
	v_mov_b32_e32 v199, 0x358637bd                             // 00000000DA88: 7F8E02FF 358637BD
	v_max3_f32 v196, |v96|, |v97|, v196                        // 00000000DA90: D1D303C4 0712C360
	v_max3_f32 v196, |v98|, |v99|, v196                        // 00000000DA98: D1D303C4 0712C762
	v_max3_f32 v197, |v100|, |v101|, v197                      // 00000000DAA0: D1D303C5 0716CB64
	v_max3_f32 v197, |v102|, |v103|, v197                      // 00000000DAA8: D1D303C5 0716CF66
	v_max3_f32 v198, |v104|, |v105|, v198                      // 00000000DAB0: D1D303C6 071AD368
	v_max3_f32 v198, |v106|, |v107|, v198                      // 00000000DAB8: D1D303C6 071AD76A
	v_max3_f32 v199, |v108|, |v109|, v199                      // 00000000DAC0: D1D303C7 071EDB6C
	v_max3_f32 v199, |v110|, |v111|, v199                      // 00000000DAC8: D1D303C7 071EDF6E
	v_max3_f32 v196, |v112|, |v113|, v196                      // 00000000DAD0: D1D303C4 0712E370
	v_max3_f32 v196, |v114|, |v115|, v196                      // 00000000DAD8: D1D303C4 0712E772
	v_max3_f32 v197, |v116|, |v117|, v197                      // 00000000DAE0: D1D303C5 0716EB74
	v_max3_f32 v197, |v118|, |v119|, v197                      // 00000000DAE8: D1D303C5 0716EF76
	v_max3_f32 v198, |v120|, |v121|, v198                      // 00000000DAF0: D1D303C6 071AF378
	v_max3_f32 v198, |v122|, |v123|, v198                      // 00000000DAF8: D1D303C6 071AF77A
	v_max3_f32 v199, |v124|, |v125|, v199                      // 00000000DB00: D1D303C7 071EFB7C
	v_max3_f32 v199, |v126|, |v127|, v199                      // 00000000DB08: D1D303C7 071EFF7E
	v_xor_b32_e32 v60, 32, v0                                  // 00000000DB10: 2A7800A0
	v_lshlrev_b32_e32 v60, 2, v60                              // 00000000DB14: 24787882
	s_nop 1                                                    // 00000000DB18: BF800001
	ds_bpermute_b32 v60, v60, v196                             // 00000000DB1C: D87E0000 3C00C43C
	s_waitcnt lgkmcnt(0)                                       // 00000000DB24: BF8CC07F
	v_max_f32_e32 v196, v60, v196                              // 00000000DB28: 1789893C
	v_xor_b32_e32 v60, 16, v0                                  // 00000000DB2C: 2A780090
	v_lshlrev_b32_e32 v60, 2, v60                              // 00000000DB30: 24787882
	s_nop 1                                                    // 00000000DB34: BF800001
	ds_bpermute_b32 v60, v60, v196                             // 00000000DB38: D87E0000 3C00C43C
	s_waitcnt lgkmcnt(0)                                       // 00000000DB40: BF8CC07F
	v_max_f32_e32 v196, v60, v196                              // 00000000DB44: 1789893C
	v_xor_b32_e32 v60, 32, v0                                  // 00000000DB48: 2A7800A0
	v_lshlrev_b32_e32 v60, 2, v60                              // 00000000DB4C: 24787882
	s_nop 1                                                    // 00000000DB50: BF800001
	ds_bpermute_b32 v60, v60, v197                             // 00000000DB54: D87E0000 3C00C53C
	s_waitcnt lgkmcnt(0)                                       // 00000000DB5C: BF8CC07F
	v_max_f32_e32 v197, v60, v197                              // 00000000DB60: 178B8B3C
	v_xor_b32_e32 v60, 16, v0                                  // 00000000DB64: 2A780090
	v_lshlrev_b32_e32 v60, 2, v60                              // 00000000DB68: 24787882
	s_nop 1                                                    // 00000000DB6C: BF800001
	ds_bpermute_b32 v60, v60, v197                             // 00000000DB70: D87E0000 3C00C53C
	s_waitcnt lgkmcnt(0)                                       // 00000000DB78: BF8CC07F
	v_max_f32_e32 v197, v60, v197                              // 00000000DB7C: 178B8B3C
	v_xor_b32_e32 v60, 32, v0                                  // 00000000DB80: 2A7800A0
	v_lshlrev_b32_e32 v60, 2, v60                              // 00000000DB84: 24787882
	s_nop 1                                                    // 00000000DB88: BF800001
	ds_bpermute_b32 v60, v60, v198                             // 00000000DB8C: D87E0000 3C00C63C
	s_waitcnt lgkmcnt(0)                                       // 00000000DB94: BF8CC07F
	v_max_f32_e32 v198, v60, v198                              // 00000000DB98: 178D8D3C
	v_xor_b32_e32 v60, 16, v0                                  // 00000000DB9C: 2A780090
	v_lshlrev_b32_e32 v60, 2, v60                              // 00000000DBA0: 24787882
	s_nop 1                                                    // 00000000DBA4: BF800001
	ds_bpermute_b32 v60, v60, v198                             // 00000000DBA8: D87E0000 3C00C63C
	s_waitcnt lgkmcnt(0)                                       // 00000000DBB0: BF8CC07F
	v_max_f32_e32 v198, v60, v198                              // 00000000DBB4: 178D8D3C
	v_xor_b32_e32 v60, 32, v0                                  // 00000000DBB8: 2A7800A0
	v_lshlrev_b32_e32 v60, 2, v60                              // 00000000DBBC: 24787882
	s_nop 1                                                    // 00000000DBC0: BF800001
	ds_bpermute_b32 v60, v60, v199                             // 00000000DBC4: D87E0000 3C00C73C
	s_waitcnt lgkmcnt(0)                                       // 00000000DBCC: BF8CC07F
	v_max_f32_e32 v199, v60, v199                              // 00000000DBD0: 178F8F3C
	v_xor_b32_e32 v60, 16, v0                                  // 00000000DBD4: 2A780090
	v_lshlrev_b32_e32 v60, 2, v60                              // 00000000DBD8: 24787882
	s_nop 1                                                    // 00000000DBDC: BF800001
	ds_bpermute_b32 v60, v60, v199                             // 00000000DBE0: D87E0000 3C00C73C
	s_waitcnt lgkmcnt(0)                                       // 00000000DBE8: BF8CC07F
	v_max_f32_e32 v199, v60, v199                              // 00000000DBEC: 178F8F3C
	v_lshlrev_b32_e32 v60, 2, v0                               // 00000000DBF0: 24780082
	s_mul_i32 s56, 64, s7                                      // 00000000DBF4: 923807C0
	v_add_u32_e32 v60, s56, v60                                // 00000000DBF8: 68787838
	s_mov_b32 s56, 0xffff                                      // 00000000DBFC: BEB800FF 0000FFFF
	s_mov_b32 s57, 0                                           // 00000000DC04: BEB90080
	s_mov_b64 exec, s[56:57]                                   // 00000000DC08: BEFE0138
	ds_write_b32 v60, v196 offset:37120                        // 00000000DC0C: D81A9100 0000C43C
	ds_write_b32 v60, v197 offset:37376                        // 00000000DC14: D81A9200 0000C53C
	ds_write_b32 v60, v198 offset:37632                        // 00000000DC1C: D81A9300 0000C63C
	ds_write_b32 v60, v199 offset:37888                        // 00000000DC24: D81A9400 0000C73C
	s_mov_b32 s56, -1                                          // 00000000DC2C: BEB800C1
	s_mov_b32 s57, -1                                          // 00000000DC30: BEB900C1
	s_mov_b64 exec, s[56:57]                                   // 00000000DC34: BEFE0138
	s_waitcnt lgkmcnt(0)                                       // 00000000DC38: BF8CC07F
	s_barrier                                                  // 00000000DC3C: BF8A0000
	v_lshlrev_b32_e32 v60, 2, v0                               // 00000000DC40: 24780082
	ds_read_b32 v252, v60 offset:37120                         // 00000000DC44: D86C9100 FC00003C
	ds_read_b32 v253, v60 offset:37376                         // 00000000DC4C: D86C9200 FD00003C
	ds_read_b32 v254, v60 offset:37632                         // 00000000DC54: D86C9300 FE00003C
	ds_read_b32 v255, v60 offset:37888                         // 00000000DC5C: D86C9400 FF00003C
	s_waitcnt lgkmcnt(0)                                       // 00000000DC64: BF8CC07F
	v_xor_b32_e32 v60, 32, v0                                  // 00000000DC68: 2A7800A0
	v_lshlrev_b32_e32 v60, 2, v60                              // 00000000DC6C: 24787882
	s_nop 1                                                    // 00000000DC70: BF800001
	ds_bpermute_b32 v60, v60, v252                             // 00000000DC74: D87E0000 3C00FC3C
	s_waitcnt lgkmcnt(0)                                       // 00000000DC7C: BF8CC07F
	v_max_f32_e32 v252, v60, v252                              // 00000000DC80: 17F9F93C
	v_xor_b32_e32 v60, 16, v0                                  // 00000000DC84: 2A780090
	v_lshlrev_b32_e32 v60, 2, v60                              // 00000000DC88: 24787882
	s_nop 1                                                    // 00000000DC8C: BF800001
	ds_bpermute_b32 v60, v60, v252                             // 00000000DC90: D87E0000 3C00FC3C
	s_waitcnt lgkmcnt(0)                                       // 00000000DC98: BF8CC07F
	v_max_f32_e32 v252, v60, v252                              // 00000000DC9C: 17F9F93C
	v_xor_b32_e32 v60, 32, v0                                  // 00000000DCA0: 2A7800A0
	v_lshlrev_b32_e32 v60, 2, v60                              // 00000000DCA4: 24787882
	s_nop 1                                                    // 00000000DCA8: BF800001
	ds_bpermute_b32 v60, v60, v253                             // 00000000DCAC: D87E0000 3C00FD3C
	s_waitcnt lgkmcnt(0)                                       // 00000000DCB4: BF8CC07F
	v_max_f32_e32 v253, v60, v253                              // 00000000DCB8: 17FBFB3C
	v_xor_b32_e32 v60, 16, v0                                  // 00000000DCBC: 2A780090
	v_lshlrev_b32_e32 v60, 2, v60                              // 00000000DCC0: 24787882
	s_nop 1                                                    // 00000000DCC4: BF800001
	ds_bpermute_b32 v60, v60, v253                             // 00000000DCC8: D87E0000 3C00FD3C
	s_waitcnt lgkmcnt(0)                                       // 00000000DCD0: BF8CC07F
	v_max_f32_e32 v253, v60, v253                              // 00000000DCD4: 17FBFB3C
	v_xor_b32_e32 v60, 32, v0                                  // 00000000DCD8: 2A7800A0
	v_lshlrev_b32_e32 v60, 2, v60                              // 00000000DCDC: 24787882
	s_nop 1                                                    // 00000000DCE0: BF800001
	ds_bpermute_b32 v60, v60, v254                             // 00000000DCE4: D87E0000 3C00FE3C
	s_waitcnt lgkmcnt(0)                                       // 00000000DCEC: BF8CC07F
	v_max_f32_e32 v254, v60, v254                              // 00000000DCF0: 17FDFD3C
	v_xor_b32_e32 v60, 16, v0                                  // 00000000DCF4: 2A780090
	v_lshlrev_b32_e32 v60, 2, v60                              // 00000000DCF8: 24787882
	s_nop 1                                                    // 00000000DCFC: BF800001
	ds_bpermute_b32 v60, v60, v254                             // 00000000DD00: D87E0000 3C00FE3C
	s_waitcnt lgkmcnt(0)                                       // 00000000DD08: BF8CC07F
	v_max_f32_e32 v254, v60, v254                              // 00000000DD0C: 17FDFD3C
	v_xor_b32_e32 v60, 32, v0                                  // 00000000DD10: 2A7800A0
	v_lshlrev_b32_e32 v60, 2, v60                              // 00000000DD14: 24787882
	s_nop 1                                                    // 00000000DD18: BF800001
	ds_bpermute_b32 v60, v60, v255                             // 00000000DD1C: D87E0000 3C00FF3C
	s_waitcnt lgkmcnt(0)                                       // 00000000DD24: BF8CC07F
	v_max_f32_e32 v255, v60, v255                              // 00000000DD28: 17FFFF3C
	v_xor_b32_e32 v60, 16, v0                                  // 00000000DD2C: 2A780090
	v_lshlrev_b32_e32 v60, 2, v60                              // 00000000DD30: 24787882
	s_nop 1                                                    // 00000000DD34: BF800001
	ds_bpermute_b32 v60, v60, v255                             // 00000000DD38: D87E0000 3C00FF3C
	s_waitcnt lgkmcnt(0)                                       // 00000000DD40: BF8CC07F
	v_max_f32_e32 v255, v60, v255                              // 00000000DD44: 17FFFF3C
	v_max_f32_e32 v196, v252, v196                             // 00000000DD48: 178989FC
	v_max_f32_e32 v197, v253, v197                             // 00000000DD4C: 178B8BFD
	v_max_f32_e32 v198, v254, v198                             // 00000000DD50: 178D8DFE
	v_max_f32_e32 v199, v255, v199                             // 00000000DD54: 178F8FFF
	v_rcp_f32_e32 v196, v196                                   // 00000000DD58: 7F8845C4
	v_rcp_f32_e32 v197, v197                                   // 00000000DD5C: 7F8A45C5
	v_rcp_f32_e32 v198, v198                                   // 00000000DD60: 7F8C45C6
	v_rcp_f32_e32 v199, v199                                   // 00000000DD64: 7F8E45C7
	v_mov_b32_e32 v60, 0x43700000                              // 00000000DD68: 7E7802FF 43700000
	v_mul_f32_e32 v196, v60, v196                              // 00000000DD70: 0B89893C
	v_mul_f32_e32 v197, v60, v197                              // 00000000DD74: 0B8B8B3C
	v_mul_f32_e32 v198, v60, v198                              // 00000000DD78: 0B8D8D3C
	v_mul_f32_e32 v199, v60, v199                              // 00000000DD7C: 0B8F8F3C
	v_mul_f32_e32 v96, v196, v96                               // 00000000DD80: 0AC0C1C4
	v_mul_f32_e32 v97, v196, v97                               // 00000000DD84: 0AC2C3C4
	v_mul_f32_e32 v98, v196, v98                               // 00000000DD88: 0AC4C5C4
	v_mul_f32_e32 v99, v196, v99                               // 00000000DD8C: 0AC6C7C4
	v_cvt_pk_fp8_f32 v72, v96, v97                             // 00000000DD90: D2A20048 0002C360
	v_cvt_pk_fp8_f32 v72, v98, v99 op_sel:[0,0,1]              // 00000000DD98: D2A24048 0002C762
	v_mul_f32_e32 v100, v197, v100                             // 00000000DDA0: 0AC8C9C5
	v_mul_f32_e32 v101, v197, v101                             // 00000000DDA4: 0ACACBC5
	v_mul_f32_e32 v102, v197, v102                             // 00000000DDA8: 0ACCCDC5
	v_mul_f32_e32 v103, v197, v103                             // 00000000DDAC: 0ACECFC5
	v_cvt_pk_fp8_f32 v73, v100, v101                           // 00000000DDB0: D2A20049 0002CB64
	v_cvt_pk_fp8_f32 v73, v102, v103 op_sel:[0,0,1]            // 00000000DDB8: D2A24049 0002CF66
	v_mul_f32_e32 v104, v198, v104                             // 00000000DDC0: 0AD0D1C6
	v_mul_f32_e32 v105, v198, v105                             // 00000000DDC4: 0AD2D3C6
	v_mul_f32_e32 v106, v198, v106                             // 00000000DDC8: 0AD4D5C6
	v_mul_f32_e32 v107, v198, v107                             // 00000000DDCC: 0AD6D7C6
	v_cvt_pk_fp8_f32 v74, v104, v105                           // 00000000DDD0: D2A2004A 0002D368
	v_cvt_pk_fp8_f32 v74, v106, v107 op_sel:[0,0,1]            // 00000000DDD8: D2A2404A 0002D76A
	v_mul_f32_e32 v108, v199, v108                             // 00000000DDE0: 0AD8D9C7
	v_mul_f32_e32 v109, v199, v109                             // 00000000DDE4: 0ADADBC7
	v_mul_f32_e32 v110, v199, v110                             // 00000000DDE8: 0ADCDDC7
	v_mul_f32_e32 v111, v199, v111                             // 00000000DDEC: 0ADEDFC7
	v_cvt_pk_fp8_f32 v75, v108, v109                           // 00000000DDF0: D2A2004B 0002DB6C
	v_cvt_pk_fp8_f32 v75, v110, v111 op_sel:[0,0,1]            // 00000000DDF8: D2A2404B 0002DF6E
	v_mul_f32_e32 v112, v196, v112                             // 00000000DE00: 0AE0E1C4
	v_mul_f32_e32 v113, v196, v113                             // 00000000DE04: 0AE2E3C4
	v_mul_f32_e32 v114, v196, v114                             // 00000000DE08: 0AE4E5C4
	v_mul_f32_e32 v115, v196, v115                             // 00000000DE0C: 0AE6E7C4
	v_cvt_pk_fp8_f32 v76, v112, v113                           // 00000000DE10: D2A2004C 0002E370
	v_cvt_pk_fp8_f32 v76, v114, v115 op_sel:[0,0,1]            // 00000000DE18: D2A2404C 0002E772
	v_mul_f32_e32 v116, v197, v116                             // 00000000DE20: 0AE8E9C5
	v_mul_f32_e32 v117, v197, v117                             // 00000000DE24: 0AEAEBC5
	v_mul_f32_e32 v118, v197, v118                             // 00000000DE28: 0AECEDC5
	v_mul_f32_e32 v119, v197, v119                             // 00000000DE2C: 0AEEEFC5
	v_cvt_pk_fp8_f32 v77, v116, v117                           // 00000000DE30: D2A2004D 0002EB74
	v_cvt_pk_fp8_f32 v77, v118, v119 op_sel:[0,0,1]            // 00000000DE38: D2A2404D 0002EF76
	v_mul_f32_e32 v120, v198, v120                             // 00000000DE40: 0AF0F1C6
	v_mul_f32_e32 v121, v198, v121                             // 00000000DE44: 0AF2F3C6
	v_mul_f32_e32 v122, v198, v122                             // 00000000DE48: 0AF4F5C6
	v_mul_f32_e32 v123, v198, v123                             // 00000000DE4C: 0AF6F7C6
	v_cvt_pk_fp8_f32 v78, v120, v121                           // 00000000DE50: D2A2004E 0002F378
	v_cvt_pk_fp8_f32 v78, v122, v123 op_sel:[0,0,1]            // 00000000DE58: D2A2404E 0002F77A
	v_mul_f32_e32 v124, v199, v124                             // 00000000DE60: 0AF8F9C7
	v_mul_f32_e32 v125, v199, v125                             // 00000000DE64: 0AFAFBC7
	v_mul_f32_e32 v126, v199, v126                             // 00000000DE68: 0AFCFDC7
	v_mul_f32_e32 v127, v199, v127                             // 00000000DE6C: 0AFEFFC7
	v_cvt_pk_fp8_f32 v79, v124, v125                           // 00000000DE70: D2A2004F 0002FB7C
	v_cvt_pk_fp8_f32 v79, v126, v127 op_sel:[0,0,1]            // 00000000DE78: D2A2404F 0002FF7E
	v_rcp_f32_e32 v25, v196                                    // 00000000DE80: 7E3245C4
	v_rcp_f32_e32 v26, v197                                    // 00000000DE84: 7E3445C5
	v_rcp_f32_e32 v27, v198                                    // 00000000DE88: 7E3645C6
	v_rcp_f32_e32 v28, v199                                    // 00000000DE8C: 7E3845C7
	v_lshrrev_b32_e32 v60, 5, v0                               // 00000000DE90: 20780085
	v_lshlrev_b32_e32 v61, 5, v60                              // 00000000DE94: 247A7885
	v_and_b32_e32 v60, 31, v0                                  // 00000000DE98: 2678009F
	v_lshrrev_b32_e32 v62, 4, v60                              // 00000000DE9C: 207C7884
	v_add_u32_e32 v61, v62, v61                                // 00000000DEA0: 687A7B3E
	v_and_b32_e32 v60, 15, v0                                  // 00000000DEA4: 2678008F
	v_lshlrev_b32_e32 v60, 1, v60                              // 00000000DEA8: 24787881
	v_add_u32_e32 v61, v60, v61                                // 00000000DEAC: 687A7B3C
	v_lshlrev_b32_e32 v60, 2, v61                              // 00000000DEB0: 24787A82
	s_mul_i32 s56, 0x100, s7                                   // 00000000DEB4: 923807FF 00000100
	v_add_u32_e64 v60, v60, s56                                // 00000000DEBC: D134003C 0000713C
	ds_write_b32 v60, v64 offset:41216                         // 00000000DEC4: D81AA100 0000403C
	ds_write_b32 v60, v65 offset:45312                         // 00000000DECC: D81AB100 0000413C
	ds_write_b32 v60, v66 offset:49408                         // 00000000DED4: D81AC100 0000423C
	ds_write_b32 v60, v67 offset:53504                         // 00000000DEDC: D81AD100 0000433C
	ds_write_b32 v60, v68 offset:42240                         // 00000000DEE4: D81AA500 0000443C
	ds_write_b32 v60, v69 offset:46336                         // 00000000DEEC: D81AB500 0000453C
	ds_write_b32 v60, v70 offset:50432                         // 00000000DEF4: D81AC500 0000463C
	ds_write_b32 v60, v71 offset:54528                         // 00000000DEFC: D81AD500 0000473C
	ds_write_b32 v60, v72 offset:43264                         // 00000000DF04: D81AA900 0000483C
	ds_write_b32 v60, v73 offset:47360                         // 00000000DF0C: D81AB900 0000493C
	ds_write_b32 v60, v74 offset:51456                         // 00000000DF14: D81AC900 00004A3C
	ds_write_b32 v60, v75 offset:55552                         // 00000000DF1C: D81AD900 00004B3C
	ds_write_b32 v60, v76 offset:44288                         // 00000000DF24: D81AAD00 00004C3C
	ds_write_b32 v60, v77 offset:48384                         // 00000000DF2C: D81ABD00 00004D3C
	ds_write_b32 v60, v78 offset:52480                         // 00000000DF34: D81ACD00 00004E3C
	ds_write_b32 v60, v79 offset:56576                         // 00000000DF3C: D81ADD00 00004F3C
	s_waitcnt lgkmcnt(0)                                       // 00000000DF44: BF8CC07F
	s_barrier                                                  // 00000000DF48: BF8A0000
	v_lshrrev_b32_e32 v60, 4, v0                               // 00000000DF4C: 20780084
	v_lshlrev_b32_e32 v61, 6, v60                              // 00000000DF50: 247A7886
	v_and_b32_e32 v60, 15, v0                                  // 00000000DF54: 2678008F
	v_lshlrev_b32_e32 v60, 1, v60                              // 00000000DF58: 24787881
	v_add_u32_e32 v61, v60, v61                                // 00000000DF5C: 687A7B3C
	v_lshlrev_b32_e32 v60, 2, v61                              // 00000000DF60: 24787A82
	ds_read_b64 a[128:129], v60 offset:41216                   // 00000000DF64: DAECA100 8000003C
	ds_read_b64 a[130:131], v60 offset:41344                   // 00000000DF6C: DAECA180 8200003C
	ds_read_b64 a[132:133], v60 offset:42240                   // 00000000DF74: DAECA500 8400003C
	ds_read_b64 a[134:135], v60 offset:42368                   // 00000000DF7C: DAECA580 8600003C
	ds_read_b64 a[136:137], v60 offset:43264                   // 00000000DF84: DAECA900 8800003C
	ds_read_b64 a[138:139], v60 offset:43392                   // 00000000DF8C: DAECA980 8A00003C
	ds_read_b64 a[140:141], v60 offset:44288                   // 00000000DF94: DAECAD00 8C00003C
	ds_read_b64 a[142:143], v60 offset:44416                   // 00000000DF9C: DAECAD80 8E00003C
	ds_read_b64 a[144:145], v60 offset:45312                   // 00000000DFA4: DAECB100 9000003C
	ds_read_b64 a[146:147], v60 offset:45440                   // 00000000DFAC: DAECB180 9200003C
	ds_read_b64 a[148:149], v60 offset:46336                   // 00000000DFB4: DAECB500 9400003C
	ds_read_b64 a[150:151], v60 offset:46464                   // 00000000DFBC: DAECB580 9600003C
	ds_read_b64 a[152:153], v60 offset:47360                   // 00000000DFC4: DAECB900 9800003C
	ds_read_b64 a[154:155], v60 offset:47488                   // 00000000DFCC: DAECB980 9A00003C
	ds_read_b64 a[156:157], v60 offset:48384                   // 00000000DFD4: DAECBD00 9C00003C
	ds_read_b64 a[158:159], v60 offset:48512                   // 00000000DFDC: DAECBD80 9E00003C
	ds_read_b64 a[160:161], v60 offset:49408                   // 00000000DFE4: DAECC100 A000003C
	ds_read_b64 a[162:163], v60 offset:49536                   // 00000000DFEC: DAECC180 A200003C
	ds_read_b64 a[164:165], v60 offset:50432                   // 00000000DFF4: DAECC500 A400003C
	ds_read_b64 a[166:167], v60 offset:50560                   // 00000000DFFC: DAECC580 A600003C
	ds_read_b64 a[168:169], v60 offset:51456                   // 00000000E004: DAECC900 A800003C
	ds_read_b64 a[170:171], v60 offset:51584                   // 00000000E00C: DAECC980 AA00003C
	ds_read_b64 a[172:173], v60 offset:52480                   // 00000000E014: DAECCD00 AC00003C
	ds_read_b64 a[174:175], v60 offset:52608                   // 00000000E01C: DAECCD80 AE00003C
	ds_read_b64 a[176:177], v60 offset:53504                   // 00000000E024: DAECD100 B000003C
	ds_read_b64 a[178:179], v60 offset:53632                   // 00000000E02C: DAECD180 B200003C
	ds_read_b64 a[180:181], v60 offset:54528                   // 00000000E034: DAECD500 B400003C
	ds_read_b64 a[182:183], v60 offset:54656                   // 00000000E03C: DAECD580 B600003C
	ds_read_b64 a[184:185], v60 offset:55552                   // 00000000E044: DAECD900 B800003C
	ds_read_b64 a[186:187], v60 offset:55680                   // 00000000E04C: DAECD980 BA00003C
	ds_read_b64 a[188:189], v60 offset:56576                   // 00000000E054: DAECDD00 BC00003C
	ds_read_b64 a[190:191], v60 offset:56704                   // 00000000E05C: DAECDD80 BE00003C
	v_lshlrev_b32_e32 v60, 2, v0                               // 00000000E064: 24780082
	s_mul_i32 s56, s78, s67                                    // 00000000E068: 9238434E
	v_add_u32_e64 v96, v60, s56                                // 00000000E06C: D1340060 0000713C
	v_mov_b32_e32 v97, 0                                       // 00000000E074: 7EC20280
	s_mul_i32 s56, s79, s67                                    // 00000000E078: 9238434F
	v_add_u32_e64 v98, v60, s56                                // 00000000E07C: D1340062 0000713C
	v_mov_b32_e32 v99, 0                                       // 00000000E084: 7EC60280
	s_mul_i32 s56, s80, s67                                    // 00000000E088: 92384350
	v_add_u32_e64 v100, v60, s56                               // 00000000E08C: D1340064 0000713C
	v_mov_b32_e32 v101, 0                                      // 00000000E094: 7ECA0280
	s_mul_i32 s56, s81, s67                                    // 00000000E098: 92384351
	v_add_u32_e64 v102, v60, s56                               // 00000000E09C: D1340066 0000713C
	v_mov_b32_e32 v103, 0                                      // 00000000E0A4: 7ECE0280
	s_mul_i32 s56, s82, s67                                    // 00000000E0A8: 92384352
	v_add_u32_e64 v104, v60, s56                               // 00000000E0AC: D1340068 0000713C
	v_mov_b32_e32 v105, 0                                      // 00000000E0B4: 7ED20280
	s_mul_i32 s56, s83, s67                                    // 00000000E0B8: 92384353
	v_add_u32_e64 v106, v60, s56                               // 00000000E0BC: D134006A 0000713C
	v_mov_b32_e32 v107, 0                                      // 00000000E0C4: 7ED60280
	s_mul_i32 s56, s84, s67                                    // 00000000E0C8: 92384354
	v_add_u32_e64 v108, v60, s56                               // 00000000E0CC: D134006C 0000713C
	v_mov_b32_e32 v109, 0                                      // 00000000E0D4: 7EDA0280
	s_mul_i32 s56, s85, s67                                    // 00000000E0D8: 92384355
	v_add_u32_e64 v110, v60, s56                               // 00000000E0DC: D134006E 0000713C
	v_mov_b32_e32 v111, 0                                      // 00000000E0E4: 7EDE0280
	s_mul_i32 s56, s86, s67                                    // 00000000E0E8: 92384356
	v_add_u32_e64 v112, v60, s56                               // 00000000E0EC: D1340070 0000713C
	v_mov_b32_e32 v113, 0                                      // 00000000E0F4: 7EE20280
	s_mul_i32 s56, s87, s67                                    // 00000000E0F8: 92384357
	v_add_u32_e64 v114, v60, s56                               // 00000000E0FC: D1340072 0000713C
	v_mov_b32_e32 v115, 0                                      // 00000000E104: 7EE60280
	s_mul_i32 s56, s88, s67                                    // 00000000E108: 92384358
	v_add_u32_e64 v116, v60, s56                               // 00000000E10C: D1340074 0000713C
	v_mov_b32_e32 v117, 0                                      // 00000000E114: 7EEA0280
	s_mul_i32 s56, s89, s67                                    // 00000000E118: 92384359
	v_add_u32_e64 v118, v60, s56                               // 00000000E11C: D1340076 0000713C
	v_mov_b32_e32 v119, 0                                      // 00000000E124: 7EEE0280
	s_mul_i32 s56, s90, s67                                    // 00000000E128: 9238435A
	v_add_u32_e64 v120, v60, s56                               // 00000000E12C: D1340078 0000713C
	v_mov_b32_e32 v121, 0                                      // 00000000E134: 7EF20280
	s_mul_i32 s56, s91, s67                                    // 00000000E138: 9238435B
	v_add_u32_e64 v122, v60, s56                               // 00000000E13C: D134007A 0000713C
	v_mov_b32_e32 v123, 0                                      // 00000000E144: 7EF60280
	s_mul_i32 s56, s92, s67                                    // 00000000E148: 9238435C
	v_add_u32_e64 v124, v60, s56                               // 00000000E14C: D134007C 0000713C
	v_mov_b32_e32 v125, 0                                      // 00000000E154: 7EFA0280
	s_mul_i32 s56, s93, s67                                    // 00000000E158: 9238435D
	v_add_u32_e64 v126, v60, s56                               // 00000000E15C: D134007E 0000713C
	v_mov_b32_e32 v127, 0                                      // 00000000E164: 7EFE0280
	s_add_u32 s12, s52, s12                                    // 00000000E168: 800C0C34
	s_addc_u32 s13, 0, s13                                     // 00000000E16C: 820D0D80
	s_add_u32 s16, s75, s16                                    // 00000000E170: 8010104B
	s_addc_u32 s17, 0, s17                                     // 00000000E174: 82111180
	s_mov_b32 s76, 0                                           // 00000000E178: BECC0080
	s_waitcnt vmcnt(0) expcnt(0) lgkmcnt(0)                    // 00000000E17C: BF8C0000

000000000000e180 <label_2CE0>:
	s_waitcnt vmcnt(12)                                        // 00000000E180: BF8C0F7C
	s_barrier                                                  // 00000000E184: BF8A0000
	v_mfma_f32_16x16x32_fp8_fp8 v[128:131], a[0:1], a[128:129], 0// 00000000E188: D3F30080 1A030100
	buffer_load_dwordx4 a[64:67], v51, s[12:15], 0 offen       // 00000000E190: E05C1000 80834033
	v_mfma_f32_16x16x32_fp8_fp8 v[128:131], a[2:3], a[130:131], v[128:131]// 00000000E198: D3F30080 1E030502
	v_mfma_f32_16x16x32_fp8_fp8 v[132:135], a[0:1], a[144:145], 0// 00000000E1A0: D3F30084 1A032100
	buffer_load_dword v38, v8, s[16:19], 0 offen               // 00000000E1A8: E0501000 80042608
	v_mfma_f32_16x16x32_fp8_fp8 v[132:135], a[2:3], a[146:147], v[132:135]// 00000000E1B0: D3F30084 1E132502
	v_mfma_f32_16x16x32_fp8_fp8 v[136:139], a[0:1], a[160:161], 0// 00000000E1B8: D3F30088 1A034100
	buffer_load_dwordx4 a[68:71], v52, s[12:15], 0 offen       // 00000000E1C0: E05C1000 80834434
	v_mfma_f32_16x16x32_fp8_fp8 v[136:139], a[2:3], a[162:163], v[136:139]// 00000000E1C8: D3F30088 1E234502
	v_mfma_f32_16x16x32_fp8_fp8 v[140:143], a[0:1], a[176:177], 0// 00000000E1D0: D3F3008C 1A036100
	v_mfma_f32_16x16x32_fp8_fp8 v[140:143], a[2:3], a[178:179], v[140:143]// 00000000E1D8: D3F3008C 1E336502
	v_mfma_f32_16x16x32_fp8_fp8 v[144:147], a[4:5], a[128:129], 0// 00000000E1E0: D3F30090 1A030104
	buffer_load_dwordx4 a[72:75], v53, s[12:15], 0 offen       // 00000000E1E8: E05C1000 80834835
	v_mfma_f32_16x16x32_fp8_fp8 v[144:147], a[6:7], a[130:131], v[144:147]// 00000000E1F0: D3F30090 1E430506
	v_mfma_f32_16x16x32_fp8_fp8 v[148:151], a[4:5], a[144:145], 0// 00000000E1F8: D3F30094 1A032104
	v_mfma_f32_16x16x32_fp8_fp8 v[148:151], a[6:7], a[146:147], v[148:151]// 00000000E200: D3F30094 1E532506
	v_mfma_f32_16x16x32_fp8_fp8 v[152:155], a[4:5], a[160:161], 0// 00000000E208: D3F30098 1A034104
	buffer_load_dwordx4 a[76:79], v54, s[12:15], 0 offen       // 00000000E210: E05C1000 80834C36
	s_add_u32 s12, s74, s12                                    // 00000000E218: 800C0C4A
	s_addc_u32 s13, 0, s13                                     // 00000000E21C: 820D0D80
	v_mfma_f32_16x16x32_fp8_fp8 v[152:155], a[6:7], a[162:163], v[152:155]// 00000000E220: D3F30098 1E634506
	v_mfma_f32_16x16x32_fp8_fp8 v[156:159], a[4:5], a[176:177], 0// 00000000E228: D3F3009C 1A036104
	v_mfma_f32_16x16x32_fp8_fp8 v[156:159], a[6:7], a[178:179], v[156:159]// 00000000E230: D3F3009C 1E736506
	s_waitcnt vmcnt(13)                                        // 00000000E238: BF8C0F7D
	v_mfma_f32_16x16x32_fp8_fp8 v[160:163], a[8:9], a[128:129], 0// 00000000E23C: D3F300A0 1A030108
	buffer_load_dwordx4 a[80:83], v51, s[12:15], 0 offen       // 00000000E244: E05C1000 80835033
	v_mfma_f32_16x16x32_fp8_fp8 v[160:163], a[10:11], a[130:131], v[160:163]// 00000000E24C: D3F300A0 1E83050A
	v_mfma_f32_16x16x32_fp8_fp8 v[164:167], a[8:9], a[144:145], 0// 00000000E254: D3F300A4 1A032108
	v_mfma_f32_16x16x32_fp8_fp8 v[164:167], a[10:11], a[146:147], v[164:167]// 00000000E25C: D3F300A4 1E93250A
	v_mfma_f32_16x16x32_fp8_fp8 v[168:171], a[8:9], a[160:161], 0// 00000000E264: D3F300A8 1A034108
	buffer_load_dwordx4 a[84:87], v52, s[12:15], 0 offen       // 00000000E26C: E05C1000 80835434
	v_mfma_f32_16x16x32_fp8_fp8 v[168:171], a[10:11], a[162:163], v[168:171]// 00000000E274: D3F300A8 1EA3450A
	v_mfma_f32_16x16x32_fp8_fp8 v[172:175], a[8:9], a[176:177], 0// 00000000E27C: D3F300AC 1A036108
	v_mfma_f32_16x16x32_fp8_fp8 v[172:175], a[10:11], a[178:179], v[172:175]// 00000000E284: D3F300AC 1EB3650A
	v_mfma_f32_16x16x32_fp8_fp8 v[176:179], a[12:13], a[128:129], 0// 00000000E28C: D3F300B0 1A03010C
	buffer_load_dwordx4 a[88:91], v53, s[12:15], 0 offen       // 00000000E294: E05C1000 80835835
	v_mfma_f32_16x16x32_fp8_fp8 v[176:179], a[14:15], a[130:131], v[176:179]// 00000000E29C: D3F300B0 1EC3050E
	v_mfma_f32_16x16x32_fp8_fp8 v[180:183], a[12:13], a[144:145], 0// 00000000E2A4: D3F300B4 1A03210C
	v_mfma_f32_16x16x32_fp8_fp8 v[180:183], a[14:15], a[146:147], v[180:183]// 00000000E2AC: D3F300B4 1ED3250E
	v_mfma_f32_16x16x32_fp8_fp8 v[184:187], a[12:13], a[160:161], 0// 00000000E2B4: D3F300B8 1A03410C
	buffer_load_dwordx4 a[92:95], v54, s[12:15], 0 offen       // 00000000E2BC: E05C1000 80835C36
	s_add_u32 s12, s74, s12                                    // 00000000E2C4: 800C0C4A
	s_addc_u32 s13, 0, s13                                     // 00000000E2C8: 820D0D80
	v_mfma_f32_16x16x32_fp8_fp8 v[184:187], a[14:15], a[162:163], v[184:187]// 00000000E2CC: D3F300B8 1EE3450E
	v_mfma_f32_16x16x32_fp8_fp8 v[188:191], a[12:13], a[176:177], 0// 00000000E2D4: D3F300BC 1A03610C
	v_mfma_f32_16x16x32_fp8_fp8 v[188:191], a[14:15], a[178:179], v[188:191]// 00000000E2DC: D3F300BC 1EF3650E
	s_waitcnt vmcnt(13)                                        // 00000000E2E4: BF8C0F7D
	v_mfma_f32_16x16x32_fp8_fp8 v[128:131], a[16:17], a[132:133], v[128:131]// 00000000E2E8: D3F30080 1E030910
	buffer_load_dwordx4 a[96:99], v51, s[12:15], 0 offen       // 00000000E2F0: E05C1000 80836033
	v_mfma_f32_16x16x32_fp8_fp8 v[128:131], a[18:19], a[134:135], v[128:131]// 00000000E2F8: D3F30080 1E030D12
	v_mfma_f32_16x16x32_fp8_fp8 v[132:135], a[16:17], a[148:149], v[132:135]// 00000000E300: D3F30084 1E132910
	v_mfma_f32_16x16x32_fp8_fp8 v[132:135], a[18:19], a[150:151], v[132:135]// 00000000E308: D3F30084 1E132D12
	v_mfma_f32_16x16x32_fp8_fp8 v[136:139], a[16:17], a[164:165], v[136:139]// 00000000E310: D3F30088 1E234910
	buffer_load_dwordx4 a[100:103], v52, s[12:15], 0 offen     // 00000000E318: E05C1000 80836434
	v_mfma_f32_16x16x32_fp8_fp8 v[136:139], a[18:19], a[166:167], v[136:139]// 00000000E320: D3F30088 1E234D12
	v_mfma_f32_16x16x32_fp8_fp8 v[140:143], a[16:17], a[180:181], v[140:143]// 00000000E328: D3F3008C 1E336910
	v_mfma_f32_16x16x32_fp8_fp8 v[140:143], a[18:19], a[182:183], v[140:143]// 00000000E330: D3F3008C 1E336D12
	v_mfma_f32_16x16x32_fp8_fp8 v[144:147], a[20:21], a[132:133], v[144:147]// 00000000E338: D3F30090 1E430914
	buffer_load_dwordx4 a[104:107], v53, s[12:15], 0 offen     // 00000000E340: E05C1000 80836835
	v_mfma_f32_16x16x32_fp8_fp8 v[144:147], a[22:23], a[134:135], v[144:147]// 00000000E348: D3F30090 1E430D16
	v_mfma_f32_16x16x32_fp8_fp8 v[148:151], a[20:21], a[148:149], v[148:151]// 00000000E350: D3F30094 1E532914
	v_mfma_f32_16x16x32_fp8_fp8 v[148:151], a[22:23], a[150:151], v[148:151]// 00000000E358: D3F30094 1E532D16
	v_mfma_f32_16x16x32_fp8_fp8 v[152:155], a[20:21], a[164:165], v[152:155]// 00000000E360: D3F30098 1E634914
	buffer_load_dwordx4 a[108:111], v54, s[12:15], 0 offen     // 00000000E368: E05C1000 80836C36
	s_add_u32 s12, s74, s12                                    // 00000000E370: 800C0C4A
	s_addc_u32 s13, 0, s13                                     // 00000000E374: 820D0D80
	v_mfma_f32_16x16x32_fp8_fp8 v[152:155], a[22:23], a[166:167], v[152:155]// 00000000E378: D3F30098 1E634D16
	v_mfma_f32_16x16x32_fp8_fp8 v[156:159], a[20:21], a[180:181], v[156:159]// 00000000E380: D3F3009C 1E736914
	v_mfma_f32_16x16x32_fp8_fp8 v[156:159], a[22:23], a[182:183], v[156:159]// 00000000E388: D3F3009C 1E736D16
	s_waitcnt vmcnt(13)                                        // 00000000E390: BF8C0F7D
	v_mfma_f32_16x16x32_fp8_fp8 v[160:163], a[24:25], a[132:133], v[160:163]// 00000000E394: D3F300A0 1E830918
	buffer_load_dwordx4 a[112:115], v51, s[12:15], 0 offen     // 00000000E39C: E05C1000 80837033
	v_mfma_f32_16x16x32_fp8_fp8 v[160:163], a[26:27], a[134:135], v[160:163]// 00000000E3A4: D3F300A0 1E830D1A
	v_mfma_f32_16x16x32_fp8_fp8 v[164:167], a[24:25], a[148:149], v[164:167]// 00000000E3AC: D3F300A4 1E932918
	v_mfma_f32_16x16x32_fp8_fp8 v[164:167], a[26:27], a[150:151], v[164:167]// 00000000E3B4: D3F300A4 1E932D1A
	v_mfma_f32_16x16x32_fp8_fp8 v[168:171], a[24:25], a[164:165], v[168:171]// 00000000E3BC: D3F300A8 1EA34918
	buffer_load_dwordx4 a[116:119], v52, s[12:15], 0 offen     // 00000000E3C4: E05C1000 80837434
	v_mfma_f32_16x16x32_fp8_fp8 v[168:171], a[26:27], a[166:167], v[168:171]// 00000000E3CC: D3F300A8 1EA34D1A
	v_mfma_f32_16x16x32_fp8_fp8 v[172:175], a[24:25], a[180:181], v[172:175]// 00000000E3D4: D3F300AC 1EB36918
	v_mfma_f32_16x16x32_fp8_fp8 v[172:175], a[26:27], a[182:183], v[172:175]// 00000000E3DC: D3F300AC 1EB36D1A
	v_mfma_f32_16x16x32_fp8_fp8 v[176:179], a[28:29], a[132:133], v[176:179]// 00000000E3E4: D3F300B0 1EC3091C
	buffer_load_dwordx4 a[120:123], v53, s[12:15], 0 offen     // 00000000E3EC: E05C1000 80837835
	v_mfma_f32_16x16x32_fp8_fp8 v[176:179], a[30:31], a[134:135], v[176:179]// 00000000E3F4: D3F300B0 1EC30D1E
	v_mfma_f32_16x16x32_fp8_fp8 v[180:183], a[28:29], a[148:149], v[180:183]// 00000000E3FC: D3F300B4 1ED3291C
	v_mfma_f32_16x16x32_fp8_fp8 v[180:183], a[30:31], a[150:151], v[180:183]// 00000000E404: D3F300B4 1ED32D1E
	v_mfma_f32_16x16x32_fp8_fp8 v[184:187], a[28:29], a[164:165], v[184:187]// 00000000E40C: D3F300B8 1EE3491C
	buffer_load_dwordx4 a[124:127], v54, s[12:15], 0 offen     // 00000000E414: E05C1000 80837C36
	v_mfma_f32_16x16x32_fp8_fp8 v[184:187], a[30:31], a[166:167], v[184:187]// 00000000E41C: D3F300B8 1EE34D1E
	v_mfma_f32_16x16x32_fp8_fp8 v[188:191], a[28:29], a[180:181], v[188:191]// 00000000E424: D3F300BC 1EF3691C
	v_mfma_f32_16x16x32_fp8_fp8 v[188:191], a[30:31], a[182:183], v[188:191]// 00000000E42C: D3F300BC 1EF36D1E
	v_mul_f32_dpp v60, v37, v21 row_newbcast:0 row_mask:0xf bank_mask:0xf// 00000000E434: 0A782AFA FF015025
	v_mov_b32_e32 v61, v60                                     // 00000000E43C: 7E7A033C
	v_pk_mul_f32 v[128:129], v[60:61], v[128:129]              // 00000000E440: D3B14080 1803013C
	v_pk_mul_f32 v[130:131], v[60:61], v[130:131]              // 00000000E448: D3B14082 1803053C
	v_pk_mul_f32 v[144:145], v[60:61], v[144:145]              // 00000000E450: D3B14090 1803213C
	v_pk_mul_f32 v[146:147], v[60:61], v[146:147]              // 00000000E458: D3B14092 1803253C
	v_mul_f32_dpp v60, v37, v21 row_newbcast:1 row_mask:0xf bank_mask:0xf// 00000000E460: 0A782AFA FF015125
	v_mov_b32_e32 v61, v60                                     // 00000000E468: 7E7A033C
	v_pk_mul_f32 v[160:161], v[60:61], v[160:161]              // 00000000E46C: D3B140A0 1803413C
	v_pk_mul_f32 v[162:163], v[60:61], v[162:163]              // 00000000E474: D3B140A2 1803453C
	v_pk_mul_f32 v[176:177], v[60:61], v[176:177]              // 00000000E47C: D3B140B0 1803613C
	v_pk_mul_f32 v[178:179], v[60:61], v[178:179]              // 00000000E484: D3B140B2 1803653C
	v_mul_f32_dpp v60, v37, v22 row_newbcast:0 row_mask:0xf bank_mask:0xf// 00000000E48C: 0A782CFA FF015025
	v_mov_b32_e32 v61, v60                                     // 00000000E494: 7E7A033C
	v_pk_mul_f32 v[132:133], v[60:61], v[132:133]              // 00000000E498: D3B14084 1803093C
	v_pk_mul_f32 v[134:135], v[60:61], v[134:135]              // 00000000E4A0: D3B14086 18030D3C
	v_pk_mul_f32 v[148:149], v[60:61], v[148:149]              // 00000000E4A8: D3B14094 1803293C
	v_pk_mul_f32 v[150:151], v[60:61], v[150:151]              // 00000000E4B0: D3B14096 18032D3C
	v_mul_f32_dpp v60, v37, v22 row_newbcast:1 row_mask:0xf bank_mask:0xf// 00000000E4B8: 0A782CFA FF015125
	v_mov_b32_e32 v61, v60                                     // 00000000E4C0: 7E7A033C
	v_pk_mul_f32 v[164:165], v[60:61], v[164:165]              // 00000000E4C4: D3B140A4 1803493C
	v_pk_mul_f32 v[166:167], v[60:61], v[166:167]              // 00000000E4CC: D3B140A6 18034D3C
	v_pk_mul_f32 v[180:181], v[60:61], v[180:181]              // 00000000E4D4: D3B140B4 1803693C
	v_pk_mul_f32 v[182:183], v[60:61], v[182:183]              // 00000000E4DC: D3B140B6 18036D3C
	v_mul_f32_dpp v60, v37, v23 row_newbcast:0 row_mask:0xf bank_mask:0xf// 00000000E4E4: 0A782EFA FF015025
	v_mov_b32_e32 v61, v60                                     // 00000000E4EC: 7E7A033C
	v_pk_mul_f32 v[136:137], v[60:61], v[136:137]              // 00000000E4F0: D3B14088 1803113C
	v_pk_mul_f32 v[138:139], v[60:61], v[138:139]              // 00000000E4F8: D3B1408A 1803153C
	v_pk_mul_f32 v[152:153], v[60:61], v[152:153]              // 00000000E500: D3B14098 1803313C
	v_pk_mul_f32 v[154:155], v[60:61], v[154:155]              // 00000000E508: D3B1409A 1803353C
	v_mul_f32_dpp v60, v37, v23 row_newbcast:1 row_mask:0xf bank_mask:0xf// 00000000E510: 0A782EFA FF015125
	v_mov_b32_e32 v61, v60                                     // 00000000E518: 7E7A033C
	v_pk_mul_f32 v[168:169], v[60:61], v[168:169]              // 00000000E51C: D3B140A8 1803513C
	v_pk_mul_f32 v[170:171], v[60:61], v[170:171]              // 00000000E524: D3B140AA 1803553C
	v_pk_mul_f32 v[184:185], v[60:61], v[184:185]              // 00000000E52C: D3B140B8 1803713C
	v_pk_mul_f32 v[186:187], v[60:61], v[186:187]              // 00000000E534: D3B140BA 1803753C
	v_mul_f32_dpp v60, v37, v24 row_newbcast:0 row_mask:0xf bank_mask:0xf// 00000000E53C: 0A7830FA FF015025
	v_mov_b32_e32 v61, v60                                     // 00000000E544: 7E7A033C
	v_pk_mul_f32 v[140:141], v[60:61], v[140:141]              // 00000000E548: D3B1408C 1803193C
	v_pk_mul_f32 v[142:143], v[60:61], v[142:143]              // 00000000E550: D3B1408E 18031D3C
	v_pk_mul_f32 v[156:157], v[60:61], v[156:157]              // 00000000E558: D3B1409C 1803393C
	v_pk_mul_f32 v[158:159], v[60:61], v[158:159]              // 00000000E560: D3B1409E 18033D3C
	v_mul_f32_dpp v60, v37, v24 row_newbcast:1 row_mask:0xf bank_mask:0xf// 00000000E568: 0A7830FA FF015125
	v_mov_b32_e32 v61, v60                                     // 00000000E570: 7E7A033C
	v_pk_mul_f32 v[172:173], v[60:61], v[172:173]              // 00000000E574: D3B140AC 1803593C
	v_pk_mul_f32 v[174:175], v[60:61], v[174:175]              // 00000000E57C: D3B140AE 18035D3C
	v_pk_mul_f32 v[188:189], v[60:61], v[188:189]              // 00000000E584: D3B140BC 1803793C
	v_pk_mul_f32 v[190:191], v[60:61], v[190:191]              // 00000000E58C: D3B140BE 18037D3C
	s_waitcnt vmcnt(13)                                        // 00000000E594: BF8C0F7D
	v_mfma_f32_16x16x32_fp8_fp8 v[192:195], a[32:33], a[136:137], 0// 00000000E598: D3F300C0 1A031120
	v_mfma_f32_16x16x32_fp8_fp8 v[192:195], a[34:35], a[138:139], v[192:195]// 00000000E5A0: D3F300C0 1F031522
	v_mfma_f32_16x16x32_fp8_fp8 v[196:199], a[32:33], a[152:153], 0// 00000000E5A8: D3F300C4 1A033120
	v_mfma_f32_16x16x32_fp8_fp8 v[196:199], a[34:35], a[154:155], v[196:199]// 00000000E5B0: D3F300C4 1F133522
	v_mfma_f32_16x16x32_fp8_fp8 v[200:203], a[32:33], a[168:169], 0// 00000000E5B8: D3F300C8 1A035120
	v_mfma_f32_16x16x32_fp8_fp8 v[200:203], a[34:35], a[170:171], v[200:203]// 00000000E5C0: D3F300C8 1F235522
	v_mfma_f32_16x16x32_fp8_fp8 v[204:207], a[32:33], a[184:185], 0// 00000000E5C8: D3F300CC 1A037120
	v_mfma_f32_16x16x32_fp8_fp8 v[204:207], a[34:35], a[186:187], v[204:207]// 00000000E5D0: D3F300CC 1F337522
	v_mfma_f32_16x16x32_fp8_fp8 v[208:211], a[36:37], a[136:137], 0// 00000000E5D8: D3F300D0 1A031124
	v_mfma_f32_16x16x32_fp8_fp8 v[208:211], a[38:39], a[138:139], v[208:211]// 00000000E5E0: D3F300D0 1F431526
	v_mfma_f32_16x16x32_fp8_fp8 v[212:215], a[36:37], a[152:153], 0// 00000000E5E8: D3F300D4 1A033124
	v_mfma_f32_16x16x32_fp8_fp8 v[212:215], a[38:39], a[154:155], v[212:215]// 00000000E5F0: D3F300D4 1F533526
	v_mfma_f32_16x16x32_fp8_fp8 v[216:219], a[36:37], a[168:169], 0// 00000000E5F8: D3F300D8 1A035124
	v_mfma_f32_16x16x32_fp8_fp8 v[216:219], a[38:39], a[170:171], v[216:219]// 00000000E600: D3F300D8 1F635526
	v_mfma_f32_16x16x32_fp8_fp8 v[220:223], a[36:37], a[184:185], 0// 00000000E608: D3F300DC 1A037124
	v_mfma_f32_16x16x32_fp8_fp8 v[220:223], a[38:39], a[186:187], v[220:223]// 00000000E610: D3F300DC 1F737526
	s_waitcnt vmcnt(13)                                        // 00000000E618: BF8C0F7D
	v_mfma_f32_16x16x32_fp8_fp8 v[224:227], a[40:41], a[136:137], 0// 00000000E61C: D3F300E0 1A031128
	v_mfma_f32_16x16x32_fp8_fp8 v[224:227], a[42:43], a[138:139], v[224:227]// 00000000E624: D3F300E0 1F83152A
	v_mfma_f32_16x16x32_fp8_fp8 v[228:231], a[40:41], a[152:153], 0// 00000000E62C: D3F300E4 1A033128
	v_mfma_f32_16x16x32_fp8_fp8 v[228:231], a[42:43], a[154:155], v[228:231]// 00000000E634: D3F300E4 1F93352A
	v_mfma_f32_16x16x32_fp8_fp8 v[232:235], a[40:41], a[168:169], 0// 00000000E63C: D3F300E8 1A035128
	v_mfma_f32_16x16x32_fp8_fp8 v[232:235], a[42:43], a[170:171], v[232:235]// 00000000E644: D3F300E8 1FA3552A
	v_mfma_f32_16x16x32_fp8_fp8 v[236:239], a[40:41], a[184:185], 0// 00000000E64C: D3F300EC 1A037128
	v_mfma_f32_16x16x32_fp8_fp8 v[236:239], a[42:43], a[186:187], v[236:239]// 00000000E654: D3F300EC 1FB3752A
	v_mfma_f32_16x16x32_fp8_fp8 v[240:243], a[44:45], a[136:137], 0// 00000000E65C: D3F300F0 1A03112C
	v_mfma_f32_16x16x32_fp8_fp8 v[240:243], a[46:47], a[138:139], v[240:243]// 00000000E664: D3F300F0 1FC3152E
	v_mfma_f32_16x16x32_fp8_fp8 v[244:247], a[44:45], a[152:153], 0// 00000000E66C: D3F300F4 1A03312C
	v_mfma_f32_16x16x32_fp8_fp8 v[244:247], a[46:47], a[154:155], v[244:247]// 00000000E674: D3F300F4 1FD3352E
	v_mfma_f32_16x16x32_fp8_fp8 v[248:251], a[44:45], a[168:169], 0// 00000000E67C: D3F300F8 1A03512C
	v_mfma_f32_16x16x32_fp8_fp8 v[248:251], a[46:47], a[170:171], v[248:251]// 00000000E684: D3F300F8 1FE3552E
	v_mfma_f32_16x16x32_fp8_fp8 v[252:255], a[44:45], a[184:185], 0// 00000000E68C: D3F300FC 1A03712C
	v_mfma_f32_16x16x32_fp8_fp8 v[252:255], a[46:47], a[186:187], v[252:255]// 00000000E694: D3F300FC 1FF3752E
	s_waitcnt vmcnt(13)                                        // 00000000E69C: BF8C0F7D
	v_mfma_f32_16x16x32_fp8_fp8 v[192:195], a[48:49], a[140:141], v[192:195]// 00000000E6A0: D3F300C0 1F031930
	v_mfma_f32_16x16x32_fp8_fp8 v[192:195], a[50:51], a[142:143], v[192:195]// 00000000E6A8: D3F300C0 1F031D32
	v_mfma_f32_16x16x32_fp8_fp8 v[196:199], a[48:49], a[156:157], v[196:199]// 00000000E6B0: D3F300C4 1F133930
	v_mfma_f32_16x16x32_fp8_fp8 v[196:199], a[50:51], a[158:159], v[196:199]// 00000000E6B8: D3F300C4 1F133D32
	v_mfma_f32_16x16x32_fp8_fp8 v[200:203], a[48:49], a[172:173], v[200:203]// 00000000E6C0: D3F300C8 1F235930
	v_mfma_f32_16x16x32_fp8_fp8 v[200:203], a[50:51], a[174:175], v[200:203]// 00000000E6C8: D3F300C8 1F235D32
	v_mfma_f32_16x16x32_fp8_fp8 v[204:207], a[48:49], a[188:189], v[204:207]// 00000000E6D0: D3F300CC 1F337930
	v_mfma_f32_16x16x32_fp8_fp8 v[204:207], a[50:51], a[190:191], v[204:207]// 00000000E6D8: D3F300CC 1F337D32
	v_mfma_f32_16x16x32_fp8_fp8 v[208:211], a[52:53], a[140:141], v[208:211]// 00000000E6E0: D3F300D0 1F431934
	v_mfma_f32_16x16x32_fp8_fp8 v[208:211], a[54:55], a[142:143], v[208:211]// 00000000E6E8: D3F300D0 1F431D36
	v_mfma_f32_16x16x32_fp8_fp8 v[212:215], a[52:53], a[156:157], v[212:215]// 00000000E6F0: D3F300D4 1F533934
	v_mfma_f32_16x16x32_fp8_fp8 v[212:215], a[54:55], a[158:159], v[212:215]// 00000000E6F8: D3F300D4 1F533D36
	v_mfma_f32_16x16x32_fp8_fp8 v[216:219], a[52:53], a[172:173], v[216:219]// 00000000E700: D3F300D8 1F635934
	v_mfma_f32_16x16x32_fp8_fp8 v[216:219], a[54:55], a[174:175], v[216:219]// 00000000E708: D3F300D8 1F635D36
	v_mfma_f32_16x16x32_fp8_fp8 v[220:223], a[52:53], a[188:189], v[220:223]// 00000000E710: D3F300DC 1F737934
	v_mfma_f32_16x16x32_fp8_fp8 v[220:223], a[54:55], a[190:191], v[220:223]// 00000000E718: D3F300DC 1F737D36
	s_waitcnt vmcnt(13)                                        // 00000000E720: BF8C0F7D
	v_mfma_f32_16x16x32_fp8_fp8 v[224:227], a[56:57], a[140:141], v[224:227]// 00000000E724: D3F300E0 1F831938
	v_mfma_f32_16x16x32_fp8_fp8 v[224:227], a[58:59], a[142:143], v[224:227]// 00000000E72C: D3F300E0 1F831D3A
	v_mfma_f32_16x16x32_fp8_fp8 v[228:231], a[56:57], a[156:157], v[228:231]// 00000000E734: D3F300E4 1F933938
	v_mfma_f32_16x16x32_fp8_fp8 v[228:231], a[58:59], a[158:159], v[228:231]// 00000000E73C: D3F300E4 1F933D3A
	v_mfma_f32_16x16x32_fp8_fp8 v[232:235], a[56:57], a[172:173], v[232:235]// 00000000E744: D3F300E8 1FA35938
	v_mfma_f32_16x16x32_fp8_fp8 v[232:235], a[58:59], a[174:175], v[232:235]// 00000000E74C: D3F300E8 1FA35D3A
	v_mfma_f32_16x16x32_fp8_fp8 v[236:239], a[56:57], a[188:189], v[236:239]// 00000000E754: D3F300EC 1FB37938
	v_mfma_f32_16x16x32_fp8_fp8 v[236:239], a[58:59], a[190:191], v[236:239]// 00000000E75C: D3F300EC 1FB37D3A
	v_mfma_f32_16x16x32_fp8_fp8 v[240:243], a[60:61], a[140:141], v[240:243]// 00000000E764: D3F300F0 1FC3193C
	v_mfma_f32_16x16x32_fp8_fp8 v[240:243], a[62:63], a[142:143], v[240:243]// 00000000E76C: D3F300F0 1FC31D3E
	v_mfma_f32_16x16x32_fp8_fp8 v[244:247], a[60:61], a[156:157], v[244:247]// 00000000E774: D3F300F4 1FD3393C
	v_mfma_f32_16x16x32_fp8_fp8 v[244:247], a[62:63], a[158:159], v[244:247]// 00000000E77C: D3F300F4 1FD33D3E
	v_mfma_f32_16x16x32_fp8_fp8 v[248:251], a[60:61], a[172:173], v[248:251]// 00000000E784: D3F300F8 1FE3593C
	v_mfma_f32_16x16x32_fp8_fp8 v[248:251], a[62:63], a[174:175], v[248:251]// 00000000E78C: D3F300F8 1FE35D3E
	v_mfma_f32_16x16x32_fp8_fp8 v[252:255], a[60:61], a[188:189], v[252:255]// 00000000E794: D3F300FC 1FF3793C
	v_mfma_f32_16x16x32_fp8_fp8 v[252:255], a[62:63], a[190:191], v[252:255]// 00000000E79C: D3F300FC 1FF37D3E
	v_mul_f32_dpp v60, v37, v25 row_newbcast:2 row_mask:0xf bank_mask:0xf// 00000000E7A4: 0A7832FA FF015225
	v_mov_b32_e32 v61, v60                                     // 00000000E7AC: 7E7A033C
	v_pk_fma_f32 v[128:129], v[192:193], v[60:61], v[128:129]  // 00000000E7B0: D3B04080 1E0279C0
	v_pk_fma_f32 v[130:131], v[194:195], v[60:61], v[130:131]  // 00000000E7B8: D3B04082 1E0A79C2
	v_pk_fma_f32 v[144:145], v[208:209], v[60:61], v[144:145]  // 00000000E7C0: D3B04090 1E4279D0
	v_pk_fma_f32 v[146:147], v[210:211], v[60:61], v[146:147]  // 00000000E7C8: D3B04092 1E4A79D2
	v_mul_f32_dpp v60, v37, v25 row_newbcast:3 row_mask:0xf bank_mask:0xf// 00000000E7D0: 0A7832FA FF015325
	v_mov_b32_e32 v61, v60                                     // 00000000E7D8: 7E7A033C
	v_pk_fma_f32 v[160:161], v[224:225], v[60:61], v[160:161]  // 00000000E7DC: D3B040A0 1E8279E0
	v_pk_fma_f32 v[162:163], v[226:227], v[60:61], v[162:163]  // 00000000E7E4: D3B040A2 1E8A79E2
	v_pk_fma_f32 v[176:177], v[240:241], v[60:61], v[176:177]  // 00000000E7EC: D3B040B0 1EC279F0
	v_pk_fma_f32 v[178:179], v[242:243], v[60:61], v[178:179]  // 00000000E7F4: D3B040B2 1ECA79F2
	v_mul_f32_dpp v60, v37, v26 row_newbcast:2 row_mask:0xf bank_mask:0xf// 00000000E7FC: 0A7834FA FF015225
	v_mov_b32_e32 v61, v60                                     // 00000000E804: 7E7A033C
	v_pk_fma_f32 v[132:133], v[196:197], v[60:61], v[132:133]  // 00000000E808: D3B04084 1E1279C4
	v_pk_fma_f32 v[134:135], v[198:199], v[60:61], v[134:135]  // 00000000E810: D3B04086 1E1A79C6
	v_pk_fma_f32 v[148:149], v[212:213], v[60:61], v[148:149]  // 00000000E818: D3B04094 1E5279D4
	v_pk_fma_f32 v[150:151], v[214:215], v[60:61], v[150:151]  // 00000000E820: D3B04096 1E5A79D6
	v_mul_f32_dpp v60, v37, v26 row_newbcast:3 row_mask:0xf bank_mask:0xf// 00000000E828: 0A7834FA FF015325
	v_mov_b32_e32 v61, v60                                     // 00000000E830: 7E7A033C
	v_pk_fma_f32 v[164:165], v[228:229], v[60:61], v[164:165]  // 00000000E834: D3B040A4 1E9279E4
	v_pk_fma_f32 v[166:167], v[230:231], v[60:61], v[166:167]  // 00000000E83C: D3B040A6 1E9A79E6
	v_pk_fma_f32 v[180:181], v[244:245], v[60:61], v[180:181]  // 00000000E844: D3B040B4 1ED279F4
	v_pk_fma_f32 v[182:183], v[246:247], v[60:61], v[182:183]  // 00000000E84C: D3B040B6 1EDA79F6
	v_mul_f32_dpp v60, v37, v27 row_newbcast:2 row_mask:0xf bank_mask:0xf// 00000000E854: 0A7836FA FF015225
	v_mov_b32_e32 v61, v60                                     // 00000000E85C: 7E7A033C
	v_pk_fma_f32 v[136:137], v[200:201], v[60:61], v[136:137]  // 00000000E860: D3B04088 1E2279C8
	v_pk_fma_f32 v[138:139], v[202:203], v[60:61], v[138:139]  // 00000000E868: D3B0408A 1E2A79CA
	v_pk_fma_f32 v[152:153], v[216:217], v[60:61], v[152:153]  // 00000000E870: D3B04098 1E6279D8
	v_pk_fma_f32 v[154:155], v[218:219], v[60:61], v[154:155]  // 00000000E878: D3B0409A 1E6A79DA
	v_mul_f32_dpp v60, v37, v27 row_newbcast:3 row_mask:0xf bank_mask:0xf// 00000000E880: 0A7836FA FF015325
	v_mov_b32_e32 v61, v60                                     // 00000000E888: 7E7A033C
	v_pk_fma_f32 v[168:169], v[232:233], v[60:61], v[168:169]  // 00000000E88C: D3B040A8 1EA279E8
	v_pk_fma_f32 v[170:171], v[234:235], v[60:61], v[170:171]  // 00000000E894: D3B040AA 1EAA79EA
	v_pk_fma_f32 v[184:185], v[248:249], v[60:61], v[184:185]  // 00000000E89C: D3B040B8 1EE279F8
	v_pk_fma_f32 v[186:187], v[250:251], v[60:61], v[186:187]  // 00000000E8A4: D3B040BA 1EEA79FA
	v_mul_f32_dpp v60, v37, v28 row_newbcast:2 row_mask:0xf bank_mask:0xf// 00000000E8AC: 0A7838FA FF015225
	v_mov_b32_e32 v61, v60                                     // 00000000E8B4: 7E7A033C
	v_pk_fma_f32 v[140:141], v[204:205], v[60:61], v[140:141]  // 00000000E8B8: D3B0408C 1E3279CC
	v_pk_fma_f32 v[142:143], v[206:207], v[60:61], v[142:143]  // 00000000E8C0: D3B0408E 1E3A79CE
	v_pk_fma_f32 v[156:157], v[220:221], v[60:61], v[156:157]  // 00000000E8C8: D3B0409C 1E7279DC
	v_pk_fma_f32 v[158:159], v[222:223], v[60:61], v[158:159]  // 00000000E8D0: D3B0409E 1E7A79DE
	v_mul_f32_dpp v60, v37, v28 row_newbcast:3 row_mask:0xf bank_mask:0xf// 00000000E8D8: 0A7838FA FF015325
	v_mov_b32_e32 v61, v60                                     // 00000000E8E0: 7E7A033C
	v_pk_fma_f32 v[172:173], v[236:237], v[60:61], v[172:173]  // 00000000E8E4: D3B040AC 1EB279EC
	v_pk_fma_f32 v[174:175], v[238:239], v[60:61], v[174:175]  // 00000000E8EC: D3B040AE 1EBA79EE
	v_pk_fma_f32 v[188:189], v[252:253], v[60:61], v[188:189]  // 00000000E8F4: D3B040BC 1EF279FC
	v_pk_fma_f32 v[190:191], v[254:255], v[60:61], v[190:191]  // 00000000E8FC: D3B040BE 1EFA79FE
	s_add_u32 s56, 0x200, s76                                  // 00000000E904: 80384CFF 00000200
	s_cmp_lt_u32 s56, s77                                      // 00000000E90C: BF0A4D38
	s_cselect_b32 s52, s52, 0                                  // 00000000E910: 85348034
	s_cselect_b32 s74, s74, 0                                  // 00000000E914: 854A804A
	s_cselect_b32 s75, s75, 0                                  // 00000000E918: 854B804B
	s_add_u32 s12, s52, s12                                    // 00000000E91C: 800C0C34
	s_addc_u32 s13, 0, s13                                     // 00000000E920: 820D0D80
	s_add_u32 s16, s75, s16                                    // 00000000E924: 8010104B
	s_addc_u32 s17, 0, s17                                     // 00000000E928: 82111180
	v_mov_b32_e32 v60, v39                                     // 00000000E92C: 7E780327
	v_mov_b32_e32 v61, v39                                     // 00000000E930: 7E7A0327
	v_pk_mul_f32 v[128:129], v[60:61], v[128:129]              // 00000000E934: D3B14080 1803013C
	v_pk_mul_f32 v[130:131], v[60:61], v[130:131]              // 00000000E93C: D3B14082 1803053C
	v_pk_mul_f32 v[144:145], v[60:61], v[144:145]              // 00000000E944: D3B14090 1803213C
	v_pk_mul_f32 v[146:147], v[60:61], v[146:147]              // 00000000E94C: D3B14092 1803253C
	v_pk_mul_f32 v[160:161], v[60:61], v[160:161]              // 00000000E954: D3B140A0 1803413C
	v_pk_mul_f32 v[162:163], v[60:61], v[162:163]              // 00000000E95C: D3B140A2 1803453C
	v_pk_mul_f32 v[176:177], v[60:61], v[176:177]              // 00000000E964: D3B140B0 1803613C
	v_pk_mul_f32 v[178:179], v[60:61], v[178:179]              // 00000000E96C: D3B140B2 1803653C
	v_mov_b32_e32 v60, v40                                     // 00000000E974: 7E780328
	v_mov_b32_e32 v61, v40                                     // 00000000E978: 7E7A0328
	v_pk_mul_f32 v[132:133], v[60:61], v[132:133]              // 00000000E97C: D3B14084 1803093C
	v_pk_mul_f32 v[134:135], v[60:61], v[134:135]              // 00000000E984: D3B14086 18030D3C
	v_pk_mul_f32 v[148:149], v[60:61], v[148:149]              // 00000000E98C: D3B14094 1803293C
	v_pk_mul_f32 v[150:151], v[60:61], v[150:151]              // 00000000E994: D3B14096 18032D3C
	v_pk_mul_f32 v[164:165], v[60:61], v[164:165]              // 00000000E99C: D3B140A4 1803493C
	v_pk_mul_f32 v[166:167], v[60:61], v[166:167]              // 00000000E9A4: D3B140A6 18034D3C
	v_pk_mul_f32 v[180:181], v[60:61], v[180:181]              // 00000000E9AC: D3B140B4 1803693C
	v_pk_mul_f32 v[182:183], v[60:61], v[182:183]              // 00000000E9B4: D3B140B6 18036D3C
	v_mov_b32_e32 v60, v41                                     // 00000000E9BC: 7E780329
	v_mov_b32_e32 v61, v41                                     // 00000000E9C0: 7E7A0329
	v_pk_mul_f32 v[136:137], v[60:61], v[136:137]              // 00000000E9C4: D3B14088 1803113C
	v_pk_mul_f32 v[138:139], v[60:61], v[138:139]              // 00000000E9CC: D3B1408A 1803153C
	v_pk_mul_f32 v[152:153], v[60:61], v[152:153]              // 00000000E9D4: D3B14098 1803313C
	v_pk_mul_f32 v[154:155], v[60:61], v[154:155]              // 00000000E9DC: D3B1409A 1803353C
	v_pk_mul_f32 v[168:169], v[60:61], v[168:169]              // 00000000E9E4: D3B140A8 1803513C
	v_pk_mul_f32 v[170:171], v[60:61], v[170:171]              // 00000000E9EC: D3B140AA 1803553C
	v_pk_mul_f32 v[184:185], v[60:61], v[184:185]              // 00000000E9F4: D3B140B8 1803713C
	v_pk_mul_f32 v[186:187], v[60:61], v[186:187]              // 00000000E9FC: D3B140BA 1803753C
	v_mov_b32_e32 v60, v42                                     // 00000000EA04: 7E78032A
	v_mov_b32_e32 v61, v42                                     // 00000000EA08: 7E7A032A
	v_pk_mul_f32 v[140:141], v[60:61], v[140:141]              // 00000000EA0C: D3B1408C 1803193C
	v_pk_mul_f32 v[142:143], v[60:61], v[142:143]              // 00000000EA14: D3B1408E 18031D3C
	v_pk_mul_f32 v[156:157], v[60:61], v[156:157]              // 00000000EA1C: D3B1409C 1803393C
	v_pk_mul_f32 v[158:159], v[60:61], v[158:159]              // 00000000EA24: D3B1409E 18033D3C
	v_pk_mul_f32 v[172:173], v[60:61], v[172:173]              // 00000000EA2C: D3B140AC 1803593C
	v_pk_mul_f32 v[174:175], v[60:61], v[174:175]              // 00000000EA34: D3B140AE 18035D3C
	v_pk_mul_f32 v[188:189], v[60:61], v[188:189]              // 00000000EA3C: D3B140BC 1803793C
	v_pk_mul_f32 v[190:191], v[60:61], v[190:191]              // 00000000EA44: D3B140BE 18037D3C
	s_mov_b32 s56, 0x7060302                                   // 00000000EA4C: BEB800FF 07060302
	v_cmp_u_f32_e64 s[48:49], v128, v128                       // 00000000EA54: D0480030 00030180
	v_add3_u32 v55, v128, v58, 1                               // 00000000EA5C: D1FF0037 02067580
	v_cndmask_b32_e64 v60, v55, v57, s[48:49]                  // 00000000EA64: D100003C 00C27337
	v_cmp_u_f32_e64 s[48:49], v129, v129                       // 00000000EA6C: D0480030 00030381
	v_add3_u32 v55, v129, v58, 1                               // 00000000EA74: D1FF0037 02067581
	v_cndmask_b32_e64 v61, v55, v57, s[48:49]                  // 00000000EA7C: D100003D 00C27337
	v_perm_b32 v128, v61, v60, s56                             // 00000000EA84: D1ED0080 00E2793D
	s_mov_b32 s56, 0x7060302                                   // 00000000EA8C: BEB800FF 07060302
	v_cmp_u_f32_e64 s[48:49], v130, v130                       // 00000000EA94: D0480030 00030582
	v_add3_u32 v55, v130, v58, 1                               // 00000000EA9C: D1FF0037 02067582
	v_cndmask_b32_e64 v60, v55, v57, s[48:49]                  // 00000000EAA4: D100003C 00C27337
	v_cmp_u_f32_e64 s[48:49], v131, v131                       // 00000000EAAC: D0480030 00030783
	v_add3_u32 v55, v131, v58, 1                               // 00000000EAB4: D1FF0037 02067583
	v_cndmask_b32_e64 v61, v55, v57, s[48:49]                  // 00000000EABC: D100003D 00C27337
	v_perm_b32 v129, v61, v60, s56                             // 00000000EAC4: D1ED0081 00E2793D
	s_mov_b32 s56, 0x7060302                                   // 00000000EACC: BEB800FF 07060302
	v_cmp_u_f32_e64 s[48:49], v132, v132                       // 00000000EAD4: D0480030 00030984
	v_add3_u32 v55, v132, v58, 1                               // 00000000EADC: D1FF0037 02067584
	v_cndmask_b32_e64 v60, v55, v57, s[48:49]                  // 00000000EAE4: D100003C 00C27337
	v_cmp_u_f32_e64 s[48:49], v133, v133                       // 00000000EAEC: D0480030 00030B85
	v_add3_u32 v55, v133, v58, 1                               // 00000000EAF4: D1FF0037 02067585
	v_cndmask_b32_e64 v61, v55, v57, s[48:49]                  // 00000000EAFC: D100003D 00C27337
	v_perm_b32 v130, v61, v60, s56                             // 00000000EB04: D1ED0082 00E2793D
	s_mov_b32 s56, 0x7060302                                   // 00000000EB0C: BEB800FF 07060302
	v_cmp_u_f32_e64 s[48:49], v134, v134                       // 00000000EB14: D0480030 00030D86
	v_add3_u32 v55, v134, v58, 1                               // 00000000EB1C: D1FF0037 02067586
	v_cndmask_b32_e64 v60, v55, v57, s[48:49]                  // 00000000EB24: D100003C 00C27337
	v_cmp_u_f32_e64 s[48:49], v135, v135                       // 00000000EB2C: D0480030 00030F87
	v_add3_u32 v55, v135, v58, 1                               // 00000000EB34: D1FF0037 02067587
	v_cndmask_b32_e64 v61, v55, v57, s[48:49]                  // 00000000EB3C: D100003D 00C27337
	v_perm_b32 v131, v61, v60, s56                             // 00000000EB44: D1ED0083 00E2793D
	s_mov_b32 s56, 0x7060302                                   // 00000000EB4C: BEB800FF 07060302
	v_cmp_u_f32_e64 s[48:49], v136, v136                       // 00000000EB54: D0480030 00031188
	v_add3_u32 v55, v136, v58, 1                               // 00000000EB5C: D1FF0037 02067588
	v_cndmask_b32_e64 v60, v55, v57, s[48:49]                  // 00000000EB64: D100003C 00C27337
	v_cmp_u_f32_e64 s[48:49], v137, v137                       // 00000000EB6C: D0480030 00031389
	v_add3_u32 v55, v137, v58, 1                               // 00000000EB74: D1FF0037 02067589
	v_cndmask_b32_e64 v61, v55, v57, s[48:49]                  // 00000000EB7C: D100003D 00C27337
	v_perm_b32 v132, v61, v60, s56                             // 00000000EB84: D1ED0084 00E2793D
	s_mov_b32 s56, 0x7060302                                   // 00000000EB8C: BEB800FF 07060302
	v_cmp_u_f32_e64 s[48:49], v138, v138                       // 00000000EB94: D0480030 0003158A
	v_add3_u32 v55, v138, v58, 1                               // 00000000EB9C: D1FF0037 0206758A
	v_cndmask_b32_e64 v60, v55, v57, s[48:49]                  // 00000000EBA4: D100003C 00C27337
	v_cmp_u_f32_e64 s[48:49], v139, v139                       // 00000000EBAC: D0480030 0003178B
	v_add3_u32 v55, v139, v58, 1                               // 00000000EBB4: D1FF0037 0206758B
	v_cndmask_b32_e64 v61, v55, v57, s[48:49]                  // 00000000EBBC: D100003D 00C27337
	v_perm_b32 v133, v61, v60, s56                             // 00000000EBC4: D1ED0085 00E2793D
	s_mov_b32 s56, 0x7060302                                   // 00000000EBCC: BEB800FF 07060302
	v_cmp_u_f32_e64 s[48:49], v140, v140                       // 00000000EBD4: D0480030 0003198C
	v_add3_u32 v55, v140, v58, 1                               // 00000000EBDC: D1FF0037 0206758C
	v_cndmask_b32_e64 v60, v55, v57, s[48:49]                  // 00000000EBE4: D100003C 00C27337
	v_cmp_u_f32_e64 s[48:49], v141, v141                       // 00000000EBEC: D0480030 00031B8D
	v_add3_u32 v55, v141, v58, 1                               // 00000000EBF4: D1FF0037 0206758D
	v_cndmask_b32_e64 v61, v55, v57, s[48:49]                  // 00000000EBFC: D100003D 00C27337
	v_perm_b32 v134, v61, v60, s56                             // 00000000EC04: D1ED0086 00E2793D
	s_mov_b32 s56, 0x7060302                                   // 00000000EC0C: BEB800FF 07060302
	v_cmp_u_f32_e64 s[48:49], v142, v142                       // 00000000EC14: D0480030 00031D8E
	v_add3_u32 v55, v142, v58, 1                               // 00000000EC1C: D1FF0037 0206758E
	v_cndmask_b32_e64 v60, v55, v57, s[48:49]                  // 00000000EC24: D100003C 00C27337
	v_cmp_u_f32_e64 s[48:49], v143, v143                       // 00000000EC2C: D0480030 00031F8F
	v_add3_u32 v55, v143, v58, 1                               // 00000000EC34: D1FF0037 0206758F
	v_cndmask_b32_e64 v61, v55, v57, s[48:49]                  // 00000000EC3C: D100003D 00C27337
	v_perm_b32 v135, v61, v60, s56                             // 00000000EC44: D1ED0087 00E2793D
	s_mov_b32 s56, 0x7060302                                   // 00000000EC4C: BEB800FF 07060302
	v_cmp_u_f32_e64 s[48:49], v144, v144                       // 00000000EC54: D0480030 00032190
	v_add3_u32 v55, v144, v58, 1                               // 00000000EC5C: D1FF0037 02067590
	v_cndmask_b32_e64 v60, v55, v57, s[48:49]                  // 00000000EC64: D100003C 00C27337
	v_cmp_u_f32_e64 s[48:49], v145, v145                       // 00000000EC6C: D0480030 00032391
	v_add3_u32 v55, v145, v58, 1                               // 00000000EC74: D1FF0037 02067591
	v_cndmask_b32_e64 v61, v55, v57, s[48:49]                  // 00000000EC7C: D100003D 00C27337
	v_perm_b32 v136, v61, v60, s56                             // 00000000EC84: D1ED0088 00E2793D
	s_mov_b32 s56, 0x7060302                                   // 00000000EC8C: BEB800FF 07060302
	v_cmp_u_f32_e64 s[48:49], v146, v146                       // 00000000EC94: D0480030 00032592
	v_add3_u32 v55, v146, v58, 1                               // 00000000EC9C: D1FF0037 02067592
	v_cndmask_b32_e64 v60, v55, v57, s[48:49]                  // 00000000ECA4: D100003C 00C27337
	v_cmp_u_f32_e64 s[48:49], v147, v147                       // 00000000ECAC: D0480030 00032793
	v_add3_u32 v55, v147, v58, 1                               // 00000000ECB4: D1FF0037 02067593
	v_cndmask_b32_e64 v61, v55, v57, s[48:49]                  // 00000000ECBC: D100003D 00C27337
	v_perm_b32 v137, v61, v60, s56                             // 00000000ECC4: D1ED0089 00E2793D
	s_mov_b32 s56, 0x7060302                                   // 00000000ECCC: BEB800FF 07060302
	v_cmp_u_f32_e64 s[48:49], v148, v148                       // 00000000ECD4: D0480030 00032994
	v_add3_u32 v55, v148, v58, 1                               // 00000000ECDC: D1FF0037 02067594
	v_cndmask_b32_e64 v60, v55, v57, s[48:49]                  // 00000000ECE4: D100003C 00C27337
	v_cmp_u_f32_e64 s[48:49], v149, v149                       // 00000000ECEC: D0480030 00032B95
	v_add3_u32 v55, v149, v58, 1                               // 00000000ECF4: D1FF0037 02067595
	v_cndmask_b32_e64 v61, v55, v57, s[48:49]                  // 00000000ECFC: D100003D 00C27337
	v_perm_b32 v138, v61, v60, s56                             // 00000000ED04: D1ED008A 00E2793D
	s_mov_b32 s56, 0x7060302                                   // 00000000ED0C: BEB800FF 07060302
	v_cmp_u_f32_e64 s[48:49], v150, v150                       // 00000000ED14: D0480030 00032D96
	v_add3_u32 v55, v150, v58, 1                               // 00000000ED1C: D1FF0037 02067596
	v_cndmask_b32_e64 v60, v55, v57, s[48:49]                  // 00000000ED24: D100003C 00C27337
	v_cmp_u_f32_e64 s[48:49], v151, v151                       // 00000000ED2C: D0480030 00032F97
	v_add3_u32 v55, v151, v58, 1                               // 00000000ED34: D1FF0037 02067597
	v_cndmask_b32_e64 v61, v55, v57, s[48:49]                  // 00000000ED3C: D100003D 00C27337
	v_perm_b32 v139, v61, v60, s56                             // 00000000ED44: D1ED008B 00E2793D
	s_mov_b32 s56, 0x7060302                                   // 00000000ED4C: BEB800FF 07060302
	v_cmp_u_f32_e64 s[48:49], v152, v152                       // 00000000ED54: D0480030 00033198
	v_add3_u32 v55, v152, v58, 1                               // 00000000ED5C: D1FF0037 02067598
	v_cndmask_b32_e64 v60, v55, v57, s[48:49]                  // 00000000ED64: D100003C 00C27337
	v_cmp_u_f32_e64 s[48:49], v153, v153                       // 00000000ED6C: D0480030 00033399
	v_add3_u32 v55, v153, v58, 1                               // 00000000ED74: D1FF0037 02067599
	v_cndmask_b32_e64 v61, v55, v57, s[48:49]                  // 00000000ED7C: D100003D 00C27337
	v_perm_b32 v140, v61, v60, s56                             // 00000000ED84: D1ED008C 00E2793D
	s_mov_b32 s56, 0x7060302                                   // 00000000ED8C: BEB800FF 07060302
	v_cmp_u_f32_e64 s[48:49], v154, v154                       // 00000000ED94: D0480030 0003359A
	v_add3_u32 v55, v154, v58, 1                               // 00000000ED9C: D1FF0037 0206759A
	v_cndmask_b32_e64 v60, v55, v57, s[48:49]                  // 00000000EDA4: D100003C 00C27337
	v_cmp_u_f32_e64 s[48:49], v155, v155                       // 00000000EDAC: D0480030 0003379B
	v_add3_u32 v55, v155, v58, 1                               // 00000000EDB4: D1FF0037 0206759B
	v_cndmask_b32_e64 v61, v55, v57, s[48:49]                  // 00000000EDBC: D100003D 00C27337
	v_perm_b32 v141, v61, v60, s56                             // 00000000EDC4: D1ED008D 00E2793D
	s_mov_b32 s56, 0x7060302                                   // 00000000EDCC: BEB800FF 07060302
	v_cmp_u_f32_e64 s[48:49], v156, v156                       // 00000000EDD4: D0480030 0003399C
	v_add3_u32 v55, v156, v58, 1                               // 00000000EDDC: D1FF0037 0206759C
	v_cndmask_b32_e64 v60, v55, v57, s[48:49]                  // 00000000EDE4: D100003C 00C27337
	v_cmp_u_f32_e64 s[48:49], v157, v157                       // 00000000EDEC: D0480030 00033B9D
	v_add3_u32 v55, v157, v58, 1                               // 00000000EDF4: D1FF0037 0206759D
	v_cndmask_b32_e64 v61, v55, v57, s[48:49]                  // 00000000EDFC: D100003D 00C27337
	v_perm_b32 v142, v61, v60, s56                             // 00000000EE04: D1ED008E 00E2793D
	s_mov_b32 s56, 0x7060302                                   // 00000000EE0C: BEB800FF 07060302
	v_cmp_u_f32_e64 s[48:49], v158, v158                       // 00000000EE14: D0480030 00033D9E
	v_add3_u32 v55, v158, v58, 1                               // 00000000EE1C: D1FF0037 0206759E
	v_cndmask_b32_e64 v60, v55, v57, s[48:49]                  // 00000000EE24: D100003C 00C27337
	v_cmp_u_f32_e64 s[48:49], v159, v159                       // 00000000EE2C: D0480030 00033F9F
	v_add3_u32 v55, v159, v58, 1                               // 00000000EE34: D1FF0037 0206759F
	v_cndmask_b32_e64 v61, v55, v57, s[48:49]                  // 00000000EE3C: D100003D 00C27337
	v_perm_b32 v143, v61, v60, s56                             // 00000000EE44: D1ED008F 00E2793D
	s_mov_b32 s56, 0x7060302                                   // 00000000EE4C: BEB800FF 07060302
	v_cmp_u_f32_e64 s[48:49], v160, v160                       // 00000000EE54: D0480030 000341A0
	v_add3_u32 v55, v160, v58, 1                               // 00000000EE5C: D1FF0037 020675A0
	v_cndmask_b32_e64 v60, v55, v57, s[48:49]                  // 00000000EE64: D100003C 00C27337
	v_cmp_u_f32_e64 s[48:49], v161, v161                       // 00000000EE6C: D0480030 000343A1
	v_add3_u32 v55, v161, v58, 1                               // 00000000EE74: D1FF0037 020675A1
	v_cndmask_b32_e64 v61, v55, v57, s[48:49]                  // 00000000EE7C: D100003D 00C27337
	v_perm_b32 v144, v61, v60, s56                             // 00000000EE84: D1ED0090 00E2793D
	s_mov_b32 s56, 0x7060302                                   // 00000000EE8C: BEB800FF 07060302
	v_cmp_u_f32_e64 s[48:49], v162, v162                       // 00000000EE94: D0480030 000345A2
	v_add3_u32 v55, v162, v58, 1                               // 00000000EE9C: D1FF0037 020675A2
	v_cndmask_b32_e64 v60, v55, v57, s[48:49]                  // 00000000EEA4: D100003C 00C27337
	v_cmp_u_f32_e64 s[48:49], v163, v163                       // 00000000EEAC: D0480030 000347A3
	v_add3_u32 v55, v163, v58, 1                               // 00000000EEB4: D1FF0037 020675A3
	v_cndmask_b32_e64 v61, v55, v57, s[48:49]                  // 00000000EEBC: D100003D 00C27337
	v_perm_b32 v145, v61, v60, s56                             // 00000000EEC4: D1ED0091 00E2793D
	s_mov_b32 s56, 0x7060302                                   // 00000000EECC: BEB800FF 07060302
	v_cmp_u_f32_e64 s[48:49], v164, v164                       // 00000000EED4: D0480030 000349A4
	v_add3_u32 v55, v164, v58, 1                               // 00000000EEDC: D1FF0037 020675A4
	v_cndmask_b32_e64 v60, v55, v57, s[48:49]                  // 00000000EEE4: D100003C 00C27337
	v_cmp_u_f32_e64 s[48:49], v165, v165                       // 00000000EEEC: D0480030 00034BA5
	v_add3_u32 v55, v165, v58, 1                               // 00000000EEF4: D1FF0037 020675A5
	v_cndmask_b32_e64 v61, v55, v57, s[48:49]                  // 00000000EEFC: D100003D 00C27337
	v_perm_b32 v146, v61, v60, s56                             // 00000000EF04: D1ED0092 00E2793D
	s_mov_b32 s56, 0x7060302                                   // 00000000EF0C: BEB800FF 07060302
	v_cmp_u_f32_e64 s[48:49], v166, v166                       // 00000000EF14: D0480030 00034DA6
	v_add3_u32 v55, v166, v58, 1                               // 00000000EF1C: D1FF0037 020675A6
	v_cndmask_b32_e64 v60, v55, v57, s[48:49]                  // 00000000EF24: D100003C 00C27337
	v_cmp_u_f32_e64 s[48:49], v167, v167                       // 00000000EF2C: D0480030 00034FA7
	v_add3_u32 v55, v167, v58, 1                               // 00000000EF34: D1FF0037 020675A7
	v_cndmask_b32_e64 v61, v55, v57, s[48:49]                  // 00000000EF3C: D100003D 00C27337
	v_perm_b32 v147, v61, v60, s56                             // 00000000EF44: D1ED0093 00E2793D
	s_mov_b32 s56, 0x7060302                                   // 00000000EF4C: BEB800FF 07060302
	v_cmp_u_f32_e64 s[48:49], v168, v168                       // 00000000EF54: D0480030 000351A8
	v_add3_u32 v55, v168, v58, 1                               // 00000000EF5C: D1FF0037 020675A8
	v_cndmask_b32_e64 v60, v55, v57, s[48:49]                  // 00000000EF64: D100003C 00C27337
	v_cmp_u_f32_e64 s[48:49], v169, v169                       // 00000000EF6C: D0480030 000353A9
	v_add3_u32 v55, v169, v58, 1                               // 00000000EF74: D1FF0037 020675A9
	v_cndmask_b32_e64 v61, v55, v57, s[48:49]                  // 00000000EF7C: D100003D 00C27337
	v_perm_b32 v148, v61, v60, s56                             // 00000000EF84: D1ED0094 00E2793D
	s_mov_b32 s56, 0x7060302                                   // 00000000EF8C: BEB800FF 07060302
	v_cmp_u_f32_e64 s[48:49], v170, v170                       // 00000000EF94: D0480030 000355AA
	v_add3_u32 v55, v170, v58, 1                               // 00000000EF9C: D1FF0037 020675AA
	v_cndmask_b32_e64 v60, v55, v57, s[48:49]                  // 00000000EFA4: D100003C 00C27337
	v_cmp_u_f32_e64 s[48:49], v171, v171                       // 00000000EFAC: D0480030 000357AB
	v_add3_u32 v55, v171, v58, 1                               // 00000000EFB4: D1FF0037 020675AB
	v_cndmask_b32_e64 v61, v55, v57, s[48:49]                  // 00000000EFBC: D100003D 00C27337
	v_perm_b32 v149, v61, v60, s56                             // 00000000EFC4: D1ED0095 00E2793D
	s_mov_b32 s56, 0x7060302                                   // 00000000EFCC: BEB800FF 07060302
	v_cmp_u_f32_e64 s[48:49], v172, v172                       // 00000000EFD4: D0480030 000359AC
	v_add3_u32 v55, v172, v58, 1                               // 00000000EFDC: D1FF0037 020675AC
	v_cndmask_b32_e64 v60, v55, v57, s[48:49]                  // 00000000EFE4: D100003C 00C27337
	v_cmp_u_f32_e64 s[48:49], v173, v173                       // 00000000EFEC: D0480030 00035BAD
	v_add3_u32 v55, v173, v58, 1                               // 00000000EFF4: D1FF0037 020675AD
	v_cndmask_b32_e64 v61, v55, v57, s[48:49]                  // 00000000EFFC: D100003D 00C27337
	v_perm_b32 v150, v61, v60, s56                             // 00000000F004: D1ED0096 00E2793D
	s_mov_b32 s56, 0x7060302                                   // 00000000F00C: BEB800FF 07060302
	v_cmp_u_f32_e64 s[48:49], v174, v174                       // 00000000F014: D0480030 00035DAE
	v_add3_u32 v55, v174, v58, 1                               // 00000000F01C: D1FF0037 020675AE
	v_cndmask_b32_e64 v60, v55, v57, s[48:49]                  // 00000000F024: D100003C 00C27337
	v_cmp_u_f32_e64 s[48:49], v175, v175                       // 00000000F02C: D0480030 00035FAF
	v_add3_u32 v55, v175, v58, 1                               // 00000000F034: D1FF0037 020675AF
	v_cndmask_b32_e64 v61, v55, v57, s[48:49]                  // 00000000F03C: D100003D 00C27337
	v_perm_b32 v151, v61, v60, s56                             // 00000000F044: D1ED0097 00E2793D
	s_mov_b32 s56, 0x7060302                                   // 00000000F04C: BEB800FF 07060302
	v_cmp_u_f32_e64 s[48:49], v176, v176                       // 00000000F054: D0480030 000361B0
	v_add3_u32 v55, v176, v58, 1                               // 00000000F05C: D1FF0037 020675B0
	v_cndmask_b32_e64 v60, v55, v57, s[48:49]                  // 00000000F064: D100003C 00C27337
	v_cmp_u_f32_e64 s[48:49], v177, v177                       // 00000000F06C: D0480030 000363B1
	v_add3_u32 v55, v177, v58, 1                               // 00000000F074: D1FF0037 020675B1
	v_cndmask_b32_e64 v61, v55, v57, s[48:49]                  // 00000000F07C: D100003D 00C27337
	v_perm_b32 v152, v61, v60, s56                             // 00000000F084: D1ED0098 00E2793D
	s_mov_b32 s56, 0x7060302                                   // 00000000F08C: BEB800FF 07060302
	v_cmp_u_f32_e64 s[48:49], v178, v178                       // 00000000F094: D0480030 000365B2
	v_add3_u32 v55, v178, v58, 1                               // 00000000F09C: D1FF0037 020675B2
	v_cndmask_b32_e64 v60, v55, v57, s[48:49]                  // 00000000F0A4: D100003C 00C27337
	v_cmp_u_f32_e64 s[48:49], v179, v179                       // 00000000F0AC: D0480030 000367B3
	v_add3_u32 v55, v179, v58, 1                               // 00000000F0B4: D1FF0037 020675B3
	v_cndmask_b32_e64 v61, v55, v57, s[48:49]                  // 00000000F0BC: D100003D 00C27337
	v_perm_b32 v153, v61, v60, s56                             // 00000000F0C4: D1ED0099 00E2793D
	s_mov_b32 s56, 0x7060302                                   // 00000000F0CC: BEB800FF 07060302
	v_cmp_u_f32_e64 s[48:49], v180, v180                       // 00000000F0D4: D0480030 000369B4
	v_add3_u32 v55, v180, v58, 1                               // 00000000F0DC: D1FF0037 020675B4
	v_cndmask_b32_e64 v60, v55, v57, s[48:49]                  // 00000000F0E4: D100003C 00C27337
	v_cmp_u_f32_e64 s[48:49], v181, v181                       // 00000000F0EC: D0480030 00036BB5
	v_add3_u32 v55, v181, v58, 1                               // 00000000F0F4: D1FF0037 020675B5
	v_cndmask_b32_e64 v61, v55, v57, s[48:49]                  // 00000000F0FC: D100003D 00C27337
	v_perm_b32 v154, v61, v60, s56                             // 00000000F104: D1ED009A 00E2793D
	s_mov_b32 s56, 0x7060302                                   // 00000000F10C: BEB800FF 07060302
	v_cmp_u_f32_e64 s[48:49], v182, v182                       // 00000000F114: D0480030 00036DB6
	v_add3_u32 v55, v182, v58, 1                               // 00000000F11C: D1FF0037 020675B6
	v_cndmask_b32_e64 v60, v55, v57, s[48:49]                  // 00000000F124: D100003C 00C27337
	v_cmp_u_f32_e64 s[48:49], v183, v183                       // 00000000F12C: D0480030 00036FB7
	v_add3_u32 v55, v183, v58, 1                               // 00000000F134: D1FF0037 020675B7
	v_cndmask_b32_e64 v61, v55, v57, s[48:49]                  // 00000000F13C: D100003D 00C27337
	v_perm_b32 v155, v61, v60, s56                             // 00000000F144: D1ED009B 00E2793D
	s_mov_b32 s56, 0x7060302                                   // 00000000F14C: BEB800FF 07060302
	v_cmp_u_f32_e64 s[48:49], v184, v184                       // 00000000F154: D0480030 000371B8
	v_add3_u32 v55, v184, v58, 1                               // 00000000F15C: D1FF0037 020675B8
	v_cndmask_b32_e64 v60, v55, v57, s[48:49]                  // 00000000F164: D100003C 00C27337
	v_cmp_u_f32_e64 s[48:49], v185, v185                       // 00000000F16C: D0480030 000373B9
	v_add3_u32 v55, v185, v58, 1                               // 00000000F174: D1FF0037 020675B9
	v_cndmask_b32_e64 v61, v55, v57, s[48:49]                  // 00000000F17C: D100003D 00C27337
	v_perm_b32 v156, v61, v60, s56                             // 00000000F184: D1ED009C 00E2793D
	s_mov_b32 s56, 0x7060302                                   // 00000000F18C: BEB800FF 07060302
	v_cmp_u_f32_e64 s[48:49], v186, v186                       // 00000000F194: D0480030 000375BA
	v_add3_u32 v55, v186, v58, 1                               // 00000000F19C: D1FF0037 020675BA
	v_cndmask_b32_e64 v60, v55, v57, s[48:49]                  // 00000000F1A4: D100003C 00C27337
	v_cmp_u_f32_e64 s[48:49], v187, v187                       // 00000000F1AC: D0480030 000377BB
	v_add3_u32 v55, v187, v58, 1                               // 00000000F1B4: D1FF0037 020675BB
	v_cndmask_b32_e64 v61, v55, v57, s[48:49]                  // 00000000F1BC: D100003D 00C27337
	v_perm_b32 v157, v61, v60, s56                             // 00000000F1C4: D1ED009D 00E2793D
	s_mov_b32 s56, 0x7060302                                   // 00000000F1CC: BEB800FF 07060302
	v_cmp_u_f32_e64 s[48:49], v188, v188                       // 00000000F1D4: D0480030 000379BC
	v_add3_u32 v55, v188, v58, 1                               // 00000000F1DC: D1FF0037 020675BC
	v_cndmask_b32_e64 v60, v55, v57, s[48:49]                  // 00000000F1E4: D100003C 00C27337
	v_cmp_u_f32_e64 s[48:49], v189, v189                       // 00000000F1EC: D0480030 00037BBD
	v_add3_u32 v55, v189, v58, 1                               // 00000000F1F4: D1FF0037 020675BD
	v_cndmask_b32_e64 v61, v55, v57, s[48:49]                  // 00000000F1FC: D100003D 00C27337
	v_perm_b32 v158, v61, v60, s56                             // 00000000F204: D1ED009E 00E2793D
	s_mov_b32 s56, 0x7060302                                   // 00000000F20C: BEB800FF 07060302
	v_cmp_u_f32_e64 s[48:49], v190, v190                       // 00000000F214: D0480030 00037DBE
	v_add3_u32 v55, v190, v58, 1                               // 00000000F21C: D1FF0037 020675BE
	v_cndmask_b32_e64 v60, v55, v57, s[48:49]                  // 00000000F224: D100003C 00C27337
	v_cmp_u_f32_e64 s[48:49], v191, v191                       // 00000000F22C: D0480030 00037FBF
	v_add3_u32 v55, v191, v58, 1                               // 00000000F234: D1FF0037 020675BF
	v_cndmask_b32_e64 v61, v55, v57, s[48:49]                  // 00000000F23C: D100003D 00C27337
	v_perm_b32 v159, v61, v60, s56                             // 00000000F244: D1ED009F 00E2793D
	ds_write_b64 v4, v[128:129]                                // 00000000F24C: D89A0000 00008004
	ds_write_b64 v4, v[130:131] offset:8704                    // 00000000F254: D89A2200 00008204
	ds_write_b64 v5, v[132:133]                                // 00000000F25C: D89A0000 00008405
	ds_write_b64 v5, v[134:135] offset:8704                    // 00000000F264: D89A2200 00008605
	ds_write_b64 v4, v[136:137] offset:2176                    // 00000000F26C: D89A0880 00008804
	ds_write_b64 v4, v[138:139] offset:10880                   // 00000000F274: D89A2A80 00008A04
	ds_write_b64 v5, v[140:141] offset:2176                    // 00000000F27C: D89A0880 00008C05
	ds_write_b64 v5, v[142:143] offset:10880                   // 00000000F284: D89A2A80 00008E05
	ds_write_b64 v4, v[144:145] offset:4352                    // 00000000F28C: D89A1100 00009004
	ds_write_b64 v4, v[146:147] offset:13056                   // 00000000F294: D89A3300 00009204
	ds_write_b64 v5, v[148:149] offset:4352                    // 00000000F29C: D89A1100 00009405
	ds_write_b64 v5, v[150:151] offset:13056                   // 00000000F2A4: D89A3300 00009605
	ds_write_b64 v4, v[152:153] offset:6528                    // 00000000F2AC: D89A1980 00009804
	ds_write_b64 v4, v[154:155] offset:15232                   // 00000000F2B4: D89A3B80 00009A04
	ds_write_b64 v5, v[156:157] offset:6528                    // 00000000F2BC: D89A1980 00009C05
	ds_write_b64 v5, v[158:159] offset:15232                   // 00000000F2C4: D89A3B80 00009E05
	s_waitcnt lgkmcnt(0)                                       // 00000000F2CC: BF8CC07F
	s_barrier                                                  // 00000000F2D0: BF8A0000
	ds_read_b32 v64, v6                                        // 00000000F2D4: D86C0000 40000006
	ds_read_b32 v65, v6 offset:4352                            // 00000000F2DC: D86C1100 41000006
	ds_read_b32 v66, v6 offset:32                              // 00000000F2E4: D86C0020 42000006
	ds_read_b32 v67, v6 offset:4384                            // 00000000F2EC: D86C1120 43000006
	ds_read_b32 v68, v6 offset:64                              // 00000000F2F4: D86C0040 44000006
	ds_read_b32 v69, v6 offset:4416                            // 00000000F2FC: D86C1140 45000006
	ds_read_b32 v70, v6 offset:96                              // 00000000F304: D86C0060 46000006
	ds_read_b32 v71, v6 offset:4448                            // 00000000F30C: D86C1160 47000006
	ds_read_b32 v72, v6 offset:8704                            // 00000000F314: D86C2200 48000006
	ds_read_b32 v73, v6 offset:13056                           // 00000000F31C: D86C3300 49000006
	ds_read_b32 v74, v6 offset:8736                            // 00000000F324: D86C2220 4A000006
	ds_read_b32 v75, v6 offset:13088                           // 00000000F32C: D86C3320 4B000006
	ds_read_b32 v76, v6 offset:8768                            // 00000000F334: D86C2240 4C000006
	ds_read_b32 v77, v6 offset:13120                           // 00000000F33C: D86C3340 4D000006
	ds_read_b32 v78, v6 offset:8800                            // 00000000F344: D86C2260 4E000006
	ds_read_b32 v79, v6 offset:13152                           // 00000000F34C: D86C3360 4F000006
	ds_read_b32 v80, v7                                        // 00000000F354: D86C0000 50000007
	ds_read_b32 v81, v7 offset:4352                            // 00000000F35C: D86C1100 51000007
	ds_read_b32 v82, v7 offset:32                              // 00000000F364: D86C0020 52000007
	ds_read_b32 v83, v7 offset:4384                            // 00000000F36C: D86C1120 53000007
	ds_read_b32 v84, v7 offset:64                              // 00000000F374: D86C0040 54000007
	ds_read_b32 v85, v7 offset:4416                            // 00000000F37C: D86C1140 55000007
	ds_read_b32 v86, v7 offset:96                              // 00000000F384: D86C0060 56000007
	ds_read_b32 v87, v7 offset:4448                            // 00000000F38C: D86C1160 57000007
	ds_read_b32 v88, v7 offset:8704                            // 00000000F394: D86C2200 58000007
	ds_read_b32 v89, v7 offset:13056                           // 00000000F39C: D86C3300 59000007
	ds_read_b32 v90, v7 offset:8736                            // 00000000F3A4: D86C2220 5A000007
	ds_read_b32 v91, v7 offset:13088                           // 00000000F3AC: D86C3320 5B000007
	ds_read_b32 v92, v7 offset:8768                            // 00000000F3B4: D86C2240 5C000007
	ds_read_b32 v93, v7 offset:13120                           // 00000000F3BC: D86C3340 5D000007
	ds_read_b32 v94, v7 offset:8800                            // 00000000F3C4: D86C2260 5E000007
	ds_read_b32 v95, v7 offset:13152                           // 00000000F3CC: D86C3360 5F000007
	s_waitcnt lgkmcnt(0)                                       // 00000000F3D4: BF8CC07F
	s_setvskip s20, 0                                          // 00000000F3D8: BF108014
	global_atomic_pk_add_bf16 v96, v64, s[8:9]                 // 00000000F3DC: DD488000 00084060
	s_setvskip 0, 0                                            // 00000000F3E4: BF108080
	s_setvskip s20, 0                                          // 00000000F3E8: BF108014
	global_atomic_pk_add_bf16 v96, v65, s[8:9] offset:256      // 00000000F3EC: DD488100 00084160
	s_setvskip 0, 0                                            // 00000000F3F4: BF108080
	s_setvskip s20, 1                                          // 00000000F3F8: BF108114
	global_atomic_pk_add_bf16 v98, v66, s[8:9]                 // 00000000F3FC: DD488000 00084262
	s_setvskip 0, 0                                            // 00000000F404: BF108080
	s_setvskip s20, 1                                          // 00000000F408: BF108114
	global_atomic_pk_add_bf16 v98, v67, s[8:9] offset:256      // 00000000F40C: DD488100 00084362
	s_setvskip 0, 0                                            // 00000000F414: BF108080
	s_setvskip s20, 2                                          // 00000000F418: BF108214
	global_atomic_pk_add_bf16 v100, v68, s[8:9]                // 00000000F41C: DD488000 00084464
	s_setvskip 0, 0                                            // 00000000F424: BF108080
	s_setvskip s20, 2                                          // 00000000F428: BF108214
	global_atomic_pk_add_bf16 v100, v69, s[8:9] offset:256     // 00000000F42C: DD488100 00084564
	s_setvskip 0, 0                                            // 00000000F434: BF108080
	s_setvskip s20, 3                                          // 00000000F438: BF108314
	global_atomic_pk_add_bf16 v102, v70, s[8:9]                // 00000000F43C: DD488000 00084666
	s_setvskip 0, 0                                            // 00000000F444: BF108080
	s_setvskip s20, 3                                          // 00000000F448: BF108314
	global_atomic_pk_add_bf16 v102, v71, s[8:9] offset:256     // 00000000F44C: DD488100 00084766
	s_setvskip 0, 0                                            // 00000000F454: BF108080
	s_setvskip s20, 4                                          // 00000000F458: BF108414
	global_atomic_pk_add_bf16 v104, v72, s[8:9]                // 00000000F45C: DD488000 00084868
	s_setvskip 0, 0                                            // 00000000F464: BF108080
	s_setvskip s20, 4                                          // 00000000F468: BF108414
	global_atomic_pk_add_bf16 v104, v73, s[8:9] offset:256     // 00000000F46C: DD488100 00084968
	s_setvskip 0, 0                                            // 00000000F474: BF108080
	s_setvskip s20, 5                                          // 00000000F478: BF108514
	global_atomic_pk_add_bf16 v106, v74, s[8:9]                // 00000000F47C: DD488000 00084A6A
	s_setvskip 0, 0                                            // 00000000F484: BF108080
	s_setvskip s20, 5                                          // 00000000F488: BF108514
	global_atomic_pk_add_bf16 v106, v75, s[8:9] offset:256     // 00000000F48C: DD488100 00084B6A
	s_setvskip 0, 0                                            // 00000000F494: BF108080
	s_setvskip s20, 6                                          // 00000000F498: BF108614
	global_atomic_pk_add_bf16 v108, v76, s[8:9]                // 00000000F49C: DD488000 00084C6C
	s_setvskip 0, 0                                            // 00000000F4A4: BF108080
	s_setvskip s20, 6                                          // 00000000F4A8: BF108614
	global_atomic_pk_add_bf16 v108, v77, s[8:9] offset:256     // 00000000F4AC: DD488100 00084D6C
	s_setvskip 0, 0                                            // 00000000F4B4: BF108080
	s_setvskip s20, 7                                          // 00000000F4B8: BF108714
	global_atomic_pk_add_bf16 v110, v78, s[8:9]                // 00000000F4BC: DD488000 00084E6E
	s_setvskip 0, 0                                            // 00000000F4C4: BF108080
	s_setvskip s20, 7                                          // 00000000F4C8: BF108714
	global_atomic_pk_add_bf16 v110, v79, s[8:9] offset:256     // 00000000F4CC: DD488100 00084F6E
	s_setvskip 0, 0                                            // 00000000F4D4: BF108080
	s_setvskip s20, 8                                          // 00000000F4D8: BF108814
	global_atomic_pk_add_bf16 v112, v80, s[8:9]                // 00000000F4DC: DD488000 00085070
	s_setvskip 0, 0                                            // 00000000F4E4: BF108080
	s_setvskip s20, 8                                          // 00000000F4E8: BF108814
	global_atomic_pk_add_bf16 v112, v81, s[8:9] offset:256     // 00000000F4EC: DD488100 00085170
	s_setvskip 0, 0                                            // 00000000F4F4: BF108080
	s_setvskip s20, 9                                          // 00000000F4F8: BF108914
	global_atomic_pk_add_bf16 v114, v82, s[8:9]                // 00000000F4FC: DD488000 00085272
	s_setvskip 0, 0                                            // 00000000F504: BF108080
	s_setvskip s20, 9                                          // 00000000F508: BF108914
	global_atomic_pk_add_bf16 v114, v83, s[8:9] offset:256     // 00000000F50C: DD488100 00085372
	s_setvskip 0, 0                                            // 00000000F514: BF108080
	s_setvskip s20, 10                                         // 00000000F518: BF108A14
	global_atomic_pk_add_bf16 v116, v84, s[8:9]                // 00000000F51C: DD488000 00085474
	s_setvskip 0, 0                                            // 00000000F524: BF108080
	s_setvskip s20, 10                                         // 00000000F528: BF108A14
	global_atomic_pk_add_bf16 v116, v85, s[8:9] offset:256     // 00000000F52C: DD488100 00085574
	s_setvskip 0, 0                                            // 00000000F534: BF108080
	s_setvskip s20, 11                                         // 00000000F538: BF108B14
	global_atomic_pk_add_bf16 v118, v86, s[8:9]                // 00000000F53C: DD488000 00085676
	s_setvskip 0, 0                                            // 00000000F544: BF108080
	s_setvskip s20, 11                                         // 00000000F548: BF108B14
	global_atomic_pk_add_bf16 v118, v87, s[8:9] offset:256     // 00000000F54C: DD488100 00085776
	s_setvskip 0, 0                                            // 00000000F554: BF108080
	s_setvskip s20, 12                                         // 00000000F558: BF108C14
	global_atomic_pk_add_bf16 v120, v88, s[8:9]                // 00000000F55C: DD488000 00085878
	s_setvskip 0, 0                                            // 00000000F564: BF108080
	s_setvskip s20, 12                                         // 00000000F568: BF108C14
	global_atomic_pk_add_bf16 v120, v89, s[8:9] offset:256     // 00000000F56C: DD488100 00085978
	s_setvskip 0, 0                                            // 00000000F574: BF108080
	s_setvskip s20, 13                                         // 00000000F578: BF108D14
	global_atomic_pk_add_bf16 v122, v90, s[8:9]                // 00000000F57C: DD488000 00085A7A
	s_setvskip 0, 0                                            // 00000000F584: BF108080
	s_setvskip s20, 13                                         // 00000000F588: BF108D14
	global_atomic_pk_add_bf16 v122, v91, s[8:9] offset:256     // 00000000F58C: DD488100 00085B7A
	s_setvskip 0, 0                                            // 00000000F594: BF108080
	s_setvskip s20, 14                                         // 00000000F598: BF108E14
	global_atomic_pk_add_bf16 v124, v92, s[8:9]                // 00000000F59C: DD488000 00085C7C
	s_setvskip 0, 0                                            // 00000000F5A4: BF108080
	s_setvskip s20, 14                                         // 00000000F5A8: BF108E14
	global_atomic_pk_add_bf16 v124, v93, s[8:9] offset:256     // 00000000F5AC: DD488100 00085D7C
	s_setvskip 0, 0                                            // 00000000F5B4: BF108080
	s_setvskip s20, 15                                         // 00000000F5B8: BF108F14
	global_atomic_pk_add_bf16 v126, v94, s[8:9]                // 00000000F5BC: DD488000 00085E7E
	s_setvskip 0, 0                                            // 00000000F5C4: BF108080
	s_setvskip s20, 15                                         // 00000000F5C8: BF108F14
	global_atomic_pk_add_bf16 v126, v95, s[8:9] offset:256     // 00000000F5CC: DD488100 00085F7E
	s_setvskip 0, 0                                            // 00000000F5D4: BF108080
	s_add_u32 s8, s55, s8                                      // 00000000F5D8: 80080837
	s_addc_u32 s9, 0, s9                                       // 00000000F5DC: 82090980
	s_addk_i32 s76, 0x100                                      // 00000000F5E0: B74C0100
	s_cmp_lt_i32 s76, s77                                      // 00000000F5E4: BF044D4C
	s_cbranch_scc0 label_1DA7                                  // 00000000F5E8: BF84EBAC
	s_waitcnt vmcnt(12)                                        // 00000000F5EC: BF8C0F7C
	s_barrier                                                  // 00000000F5F0: BF8A0000
	v_mfma_f32_16x16x32_fp8_fp8 v[192:195], a[64:65], a[128:129], 0// 00000000F5F4: D3F300C0 1A030140
	buffer_load_dwordx4 a[0:3], v51, s[12:15], 0 offen         // 00000000F5FC: E05C1000 80830033
	v_mfma_f32_16x16x32_fp8_fp8 v[192:195], a[66:67], a[130:131], v[192:195]// 00000000F604: D3F300C0 1F030542
	v_mfma_f32_16x16x32_fp8_fp8 v[196:199], a[64:65], a[144:145], 0// 00000000F60C: D3F300C4 1A032140
	buffer_load_dword v37, v8, s[16:19], 0 offen               // 00000000F614: E0501000 80042508
	v_mfma_f32_16x16x32_fp8_fp8 v[196:199], a[66:67], a[146:147], v[196:199]// 00000000F61C: D3F300C4 1F132542
	v_mfma_f32_16x16x32_fp8_fp8 v[200:203], a[64:65], a[160:161], 0// 00000000F624: D3F300C8 1A034140
	buffer_load_dwordx4 a[4:7], v52, s[12:15], 0 offen         // 00000000F62C: E05C1000 80830434
	v_mfma_f32_16x16x32_fp8_fp8 v[200:203], a[66:67], a[162:163], v[200:203]// 00000000F634: D3F300C8 1F234542
	v_mfma_f32_16x16x32_fp8_fp8 v[204:207], a[64:65], a[176:177], 0// 00000000F63C: D3F300CC 1A036140
	v_mfma_f32_16x16x32_fp8_fp8 v[204:207], a[66:67], a[178:179], v[204:207]// 00000000F644: D3F300CC 1F336542
	v_mfma_f32_16x16x32_fp8_fp8 v[208:211], a[68:69], a[128:129], 0// 00000000F64C: D3F300D0 1A030144
	buffer_load_dwordx4 a[8:11], v53, s[12:15], 0 offen        // 00000000F654: E05C1000 80830835
	v_mfma_f32_16x16x32_fp8_fp8 v[208:211], a[70:71], a[130:131], v[208:211]// 00000000F65C: D3F300D0 1F430546
	v_mfma_f32_16x16x32_fp8_fp8 v[212:215], a[68:69], a[144:145], 0// 00000000F664: D3F300D4 1A032144
	v_mfma_f32_16x16x32_fp8_fp8 v[212:215], a[70:71], a[146:147], v[212:215]// 00000000F66C: D3F300D4 1F532546
	v_mfma_f32_16x16x32_fp8_fp8 v[216:219], a[68:69], a[160:161], 0// 00000000F674: D3F300D8 1A034144
	buffer_load_dwordx4 a[12:15], v54, s[12:15], 0 offen       // 00000000F67C: E05C1000 80830C36
	s_add_u32 s12, s74, s12                                    // 00000000F684: 800C0C4A
	s_addc_u32 s13, 0, s13                                     // 00000000F688: 820D0D80
	v_mfma_f32_16x16x32_fp8_fp8 v[216:219], a[70:71], a[162:163], v[216:219]// 00000000F68C: D3F300D8 1F634546
	v_mfma_f32_16x16x32_fp8_fp8 v[220:223], a[68:69], a[176:177], 0// 00000000F694: D3F300DC 1A036144
	v_mfma_f32_16x16x32_fp8_fp8 v[220:223], a[70:71], a[178:179], v[220:223]// 00000000F69C: D3F300DC 1F736546
	s_waitcnt vmcnt(13)                                        // 00000000F6A4: BF8C0F7D
	v_mfma_f32_16x16x32_fp8_fp8 v[224:227], a[72:73], a[128:129], 0// 00000000F6A8: D3F300E0 1A030148
	buffer_load_dwordx4 a[16:19], v51, s[12:15], 0 offen       // 00000000F6B0: E05C1000 80831033
	v_mfma_f32_16x16x32_fp8_fp8 v[224:227], a[74:75], a[130:131], v[224:227]// 00000000F6B8: D3F300E0 1F83054A
	v_mfma_f32_16x16x32_fp8_fp8 v[228:231], a[72:73], a[144:145], 0// 00000000F6C0: D3F300E4 1A032148
	v_mfma_f32_16x16x32_fp8_fp8 v[228:231], a[74:75], a[146:147], v[228:231]// 00000000F6C8: D3F300E4 1F93254A
	v_mfma_f32_16x16x32_fp8_fp8 v[232:235], a[72:73], a[160:161], 0// 00000000F6D0: D3F300E8 1A034148
	buffer_load_dwordx4 a[20:23], v52, s[12:15], 0 offen       // 00000000F6D8: E05C1000 80831434
	v_mfma_f32_16x16x32_fp8_fp8 v[232:235], a[74:75], a[162:163], v[232:235]// 00000000F6E0: D3F300E8 1FA3454A
	v_mfma_f32_16x16x32_fp8_fp8 v[236:239], a[72:73], a[176:177], 0// 00000000F6E8: D3F300EC 1A036148
	v_mfma_f32_16x16x32_fp8_fp8 v[236:239], a[74:75], a[178:179], v[236:239]// 00000000F6F0: D3F300EC 1FB3654A
	v_mfma_f32_16x16x32_fp8_fp8 v[240:243], a[76:77], a[128:129], 0// 00000000F6F8: D3F300F0 1A03014C
	buffer_load_dwordx4 a[24:27], v53, s[12:15], 0 offen       // 00000000F700: E05C1000 80831835
	v_mfma_f32_16x16x32_fp8_fp8 v[240:243], a[78:79], a[130:131], v[240:243]// 00000000F708: D3F300F0 1FC3054E
	v_mfma_f32_16x16x32_fp8_fp8 v[244:247], a[76:77], a[144:145], 0// 00000000F710: D3F300F4 1A03214C
	v_mfma_f32_16x16x32_fp8_fp8 v[244:247], a[78:79], a[146:147], v[244:247]// 00000000F718: D3F300F4 1FD3254E
	v_mfma_f32_16x16x32_fp8_fp8 v[248:251], a[76:77], a[160:161], 0// 00000000F720: D3F300F8 1A03414C
	buffer_load_dwordx4 a[28:31], v54, s[12:15], 0 offen       // 00000000F728: E05C1000 80831C36
	s_add_u32 s12, s74, s12                                    // 00000000F730: 800C0C4A
	s_addc_u32 s13, 0, s13                                     // 00000000F734: 820D0D80
	v_mfma_f32_16x16x32_fp8_fp8 v[248:251], a[78:79], a[162:163], v[248:251]// 00000000F738: D3F300F8 1FE3454E
	v_mfma_f32_16x16x32_fp8_fp8 v[252:255], a[76:77], a[176:177], 0// 00000000F740: D3F300FC 1A03614C
	v_mfma_f32_16x16x32_fp8_fp8 v[252:255], a[78:79], a[178:179], v[252:255]// 00000000F748: D3F300FC 1FF3654E
	s_waitcnt vmcnt(13)                                        // 00000000F750: BF8C0F7D
	v_mfma_f32_16x16x32_fp8_fp8 v[192:195], a[80:81], a[132:133], v[192:195]// 00000000F754: D3F300C0 1F030950
	buffer_load_dwordx4 a[32:35], v51, s[12:15], 0 offen       // 00000000F75C: E05C1000 80832033
	v_mfma_f32_16x16x32_fp8_fp8 v[192:195], a[82:83], a[134:135], v[192:195]// 00000000F764: D3F300C0 1F030D52
	v_mfma_f32_16x16x32_fp8_fp8 v[196:199], a[80:81], a[148:149], v[196:199]// 00000000F76C: D3F300C4 1F132950
	v_mfma_f32_16x16x32_fp8_fp8 v[196:199], a[82:83], a[150:151], v[196:199]// 00000000F774: D3F300C4 1F132D52
	v_mfma_f32_16x16x32_fp8_fp8 v[200:203], a[80:81], a[164:165], v[200:203]// 00000000F77C: D3F300C8 1F234950
	buffer_load_dwordx4 a[36:39], v52, s[12:15], 0 offen       // 00000000F784: E05C1000 80832434
	v_mfma_f32_16x16x32_fp8_fp8 v[200:203], a[82:83], a[166:167], v[200:203]// 00000000F78C: D3F300C8 1F234D52
	v_mfma_f32_16x16x32_fp8_fp8 v[204:207], a[80:81], a[180:181], v[204:207]// 00000000F794: D3F300CC 1F336950
	v_mfma_f32_16x16x32_fp8_fp8 v[204:207], a[82:83], a[182:183], v[204:207]// 00000000F79C: D3F300CC 1F336D52
	v_mfma_f32_16x16x32_fp8_fp8 v[208:211], a[84:85], a[132:133], v[208:211]// 00000000F7A4: D3F300D0 1F430954
	buffer_load_dwordx4 a[40:43], v53, s[12:15], 0 offen       // 00000000F7AC: E05C1000 80832835
	v_mfma_f32_16x16x32_fp8_fp8 v[208:211], a[86:87], a[134:135], v[208:211]// 00000000F7B4: D3F300D0 1F430D56
	v_mfma_f32_16x16x32_fp8_fp8 v[212:215], a[84:85], a[148:149], v[212:215]// 00000000F7BC: D3F300D4 1F532954
	v_mfma_f32_16x16x32_fp8_fp8 v[212:215], a[86:87], a[150:151], v[212:215]// 00000000F7C4: D3F300D4 1F532D56
	v_mfma_f32_16x16x32_fp8_fp8 v[216:219], a[84:85], a[164:165], v[216:219]// 00000000F7CC: D3F300D8 1F634954
	buffer_load_dwordx4 a[44:47], v54, s[12:15], 0 offen       // 00000000F7D4: E05C1000 80832C36
	s_add_u32 s12, s74, s12                                    // 00000000F7DC: 800C0C4A
	s_addc_u32 s13, 0, s13                                     // 00000000F7E0: 820D0D80
	v_mfma_f32_16x16x32_fp8_fp8 v[216:219], a[86:87], a[166:167], v[216:219]// 00000000F7E4: D3F300D8 1F634D56
	v_mfma_f32_16x16x32_fp8_fp8 v[220:223], a[84:85], a[180:181], v[220:223]// 00000000F7EC: D3F300DC 1F736954
	v_mfma_f32_16x16x32_fp8_fp8 v[220:223], a[86:87], a[182:183], v[220:223]// 00000000F7F4: D3F300DC 1F736D56
	s_waitcnt vmcnt(13)                                        // 00000000F7FC: BF8C0F7D
	v_mfma_f32_16x16x32_fp8_fp8 v[224:227], a[88:89], a[132:133], v[224:227]// 00000000F800: D3F300E0 1F830958
	buffer_load_dwordx4 a[48:51], v51, s[12:15], 0 offen       // 00000000F808: E05C1000 80833033
	v_mfma_f32_16x16x32_fp8_fp8 v[224:227], a[90:91], a[134:135], v[224:227]// 00000000F810: D3F300E0 1F830D5A
	v_mfma_f32_16x16x32_fp8_fp8 v[228:231], a[88:89], a[148:149], v[228:231]// 00000000F818: D3F300E4 1F932958
	v_mfma_f32_16x16x32_fp8_fp8 v[228:231], a[90:91], a[150:151], v[228:231]// 00000000F820: D3F300E4 1F932D5A
	v_mfma_f32_16x16x32_fp8_fp8 v[232:235], a[88:89], a[164:165], v[232:235]// 00000000F828: D3F300E8 1FA34958
	buffer_load_dwordx4 a[52:55], v52, s[12:15], 0 offen       // 00000000F830: E05C1000 80833434
	v_mfma_f32_16x16x32_fp8_fp8 v[232:235], a[90:91], a[166:167], v[232:235]// 00000000F838: D3F300E8 1FA34D5A
	v_mfma_f32_16x16x32_fp8_fp8 v[236:239], a[88:89], a[180:181], v[236:239]// 00000000F840: D3F300EC 1FB36958
	v_mfma_f32_16x16x32_fp8_fp8 v[236:239], a[90:91], a[182:183], v[236:239]// 00000000F848: D3F300EC 1FB36D5A
	v_mfma_f32_16x16x32_fp8_fp8 v[240:243], a[92:93], a[132:133], v[240:243]// 00000000F850: D3F300F0 1FC3095C
	buffer_load_dwordx4 a[56:59], v53, s[12:15], 0 offen       // 00000000F858: E05C1000 80833835
	v_mfma_f32_16x16x32_fp8_fp8 v[240:243], a[94:95], a[134:135], v[240:243]// 00000000F860: D3F300F0 1FC30D5E
	v_mfma_f32_16x16x32_fp8_fp8 v[244:247], a[92:93], a[148:149], v[244:247]// 00000000F868: D3F300F4 1FD3295C
	v_mfma_f32_16x16x32_fp8_fp8 v[244:247], a[94:95], a[150:151], v[244:247]// 00000000F870: D3F300F4 1FD32D5E
	v_mfma_f32_16x16x32_fp8_fp8 v[248:251], a[92:93], a[164:165], v[248:251]// 00000000F878: D3F300F8 1FE3495C
	buffer_load_dwordx4 a[60:63], v54, s[12:15], 0 offen       // 00000000F880: E05C1000 80833C36
	v_mfma_f32_16x16x32_fp8_fp8 v[248:251], a[94:95], a[166:167], v[248:251]// 00000000F888: D3F300F8 1FE34D5E
	v_mfma_f32_16x16x32_fp8_fp8 v[252:255], a[92:93], a[180:181], v[252:255]// 00000000F890: D3F300FC 1FF3695C
	v_mfma_f32_16x16x32_fp8_fp8 v[252:255], a[94:95], a[182:183], v[252:255]// 00000000F898: D3F300FC 1FF36D5E
	v_mul_f32_dpp v60, v38, v21 row_newbcast:0 row_mask:0xf bank_mask:0xf// 00000000F8A0: 0A782AFA FF015026
	v_mov_b32_e32 v61, v60                                     // 00000000F8A8: 7E7A033C
	v_pk_mul_f32 v[192:193], v[60:61], v[192:193]              // 00000000F8AC: D3B140C0 1803813C
	v_pk_mul_f32 v[194:195], v[60:61], v[194:195]              // 00000000F8B4: D3B140C2 1803853C
	v_pk_mul_f32 v[208:209], v[60:61], v[208:209]              // 00000000F8BC: D3B140D0 1803A13C
	v_pk_mul_f32 v[210:211], v[60:61], v[210:211]              // 00000000F8C4: D3B140D2 1803A53C
	v_mul_f32_dpp v60, v38, v21 row_newbcast:1 row_mask:0xf bank_mask:0xf// 00000000F8CC: 0A782AFA FF015126
	v_mov_b32_e32 v61, v60                                     // 00000000F8D4: 7E7A033C
	v_pk_mul_f32 v[224:225], v[60:61], v[224:225]              // 00000000F8D8: D3B140E0 1803C13C
	v_pk_mul_f32 v[226:227], v[60:61], v[226:227]              // 00000000F8E0: D3B140E2 1803C53C
	v_pk_mul_f32 v[240:241], v[60:61], v[240:241]              // 00000000F8E8: D3B140F0 1803E13C
	v_pk_mul_f32 v[242:243], v[60:61], v[242:243]              // 00000000F8F0: D3B140F2 1803E53C
	v_mul_f32_dpp v60, v38, v22 row_newbcast:0 row_mask:0xf bank_mask:0xf// 00000000F8F8: 0A782CFA FF015026
	v_mov_b32_e32 v61, v60                                     // 00000000F900: 7E7A033C
	v_pk_mul_f32 v[196:197], v[60:61], v[196:197]              // 00000000F904: D3B140C4 1803893C
	v_pk_mul_f32 v[198:199], v[60:61], v[198:199]              // 00000000F90C: D3B140C6 18038D3C
	v_pk_mul_f32 v[212:213], v[60:61], v[212:213]              // 00000000F914: D3B140D4 1803A93C
	v_pk_mul_f32 v[214:215], v[60:61], v[214:215]              // 00000000F91C: D3B140D6 1803AD3C
	v_mul_f32_dpp v60, v38, v22 row_newbcast:1 row_mask:0xf bank_mask:0xf// 00000000F924: 0A782CFA FF015126
	v_mov_b32_e32 v61, v60                                     // 00000000F92C: 7E7A033C
	v_pk_mul_f32 v[228:229], v[60:61], v[228:229]              // 00000000F930: D3B140E4 1803C93C
	v_pk_mul_f32 v[230:231], v[60:61], v[230:231]              // 00000000F938: D3B140E6 1803CD3C
	v_pk_mul_f32 v[244:245], v[60:61], v[244:245]              // 00000000F940: D3B140F4 1803E93C
	v_pk_mul_f32 v[246:247], v[60:61], v[246:247]              // 00000000F948: D3B140F6 1803ED3C
	v_mul_f32_dpp v60, v38, v23 row_newbcast:0 row_mask:0xf bank_mask:0xf// 00000000F950: 0A782EFA FF015026
	v_mov_b32_e32 v61, v60                                     // 00000000F958: 7E7A033C
	v_pk_mul_f32 v[200:201], v[60:61], v[200:201]              // 00000000F95C: D3B140C8 1803913C
	v_pk_mul_f32 v[202:203], v[60:61], v[202:203]              // 00000000F964: D3B140CA 1803953C
	v_pk_mul_f32 v[216:217], v[60:61], v[216:217]              // 00000000F96C: D3B140D8 1803B13C
	v_pk_mul_f32 v[218:219], v[60:61], v[218:219]              // 00000000F974: D3B140DA 1803B53C
	v_mul_f32_dpp v60, v38, v23 row_newbcast:1 row_mask:0xf bank_mask:0xf// 00000000F97C: 0A782EFA FF015126
	v_mov_b32_e32 v61, v60                                     // 00000000F984: 7E7A033C
	v_pk_mul_f32 v[232:233], v[60:61], v[232:233]              // 00000000F988: D3B140E8 1803D13C
	v_pk_mul_f32 v[234:235], v[60:61], v[234:235]              // 00000000F990: D3B140EA 1803D53C
	v_pk_mul_f32 v[248:249], v[60:61], v[248:249]              // 00000000F998: D3B140F8 1803F13C
	v_pk_mul_f32 v[250:251], v[60:61], v[250:251]              // 00000000F9A0: D3B140FA 1803F53C
	v_mul_f32_dpp v60, v38, v24 row_newbcast:0 row_mask:0xf bank_mask:0xf// 00000000F9A8: 0A7830FA FF015026
	v_mov_b32_e32 v61, v60                                     // 00000000F9B0: 7E7A033C
	v_pk_mul_f32 v[204:205], v[60:61], v[204:205]              // 00000000F9B4: D3B140CC 1803993C
	v_pk_mul_f32 v[206:207], v[60:61], v[206:207]              // 00000000F9BC: D3B140CE 18039D3C
	v_pk_mul_f32 v[220:221], v[60:61], v[220:221]              // 00000000F9C4: D3B140DC 1803B93C
	v_pk_mul_f32 v[222:223], v[60:61], v[222:223]              // 00000000F9CC: D3B140DE 1803BD3C
	v_mul_f32_dpp v60, v38, v24 row_newbcast:1 row_mask:0xf bank_mask:0xf// 00000000F9D4: 0A7830FA FF015126
	v_mov_b32_e32 v61, v60                                     // 00000000F9DC: 7E7A033C
	v_pk_mul_f32 v[236:237], v[60:61], v[236:237]              // 00000000F9E0: D3B140EC 1803D93C
	v_pk_mul_f32 v[238:239], v[60:61], v[238:239]              // 00000000F9E8: D3B140EE 1803DD3C
	v_pk_mul_f32 v[252:253], v[60:61], v[252:253]              // 00000000F9F0: D3B140FC 1803F93C
	v_pk_mul_f32 v[254:255], v[60:61], v[254:255]              // 00000000F9F8: D3B140FE 1803FD3C
	s_waitcnt vmcnt(13)                                        // 00000000FA00: BF8C0F7D
	v_mfma_f32_16x16x32_fp8_fp8 v[128:131], a[96:97], a[136:137], 0// 00000000FA04: D3F30080 1A031160
	v_mfma_f32_16x16x32_fp8_fp8 v[128:131], a[98:99], a[138:139], v[128:131]// 00000000FA0C: D3F30080 1E031562
	v_mfma_f32_16x16x32_fp8_fp8 v[132:135], a[96:97], a[152:153], 0// 00000000FA14: D3F30084 1A033160
	v_mfma_f32_16x16x32_fp8_fp8 v[132:135], a[98:99], a[154:155], v[132:135]// 00000000FA1C: D3F30084 1E133562
	v_mfma_f32_16x16x32_fp8_fp8 v[136:139], a[96:97], a[168:169], 0// 00000000FA24: D3F30088 1A035160
	v_mfma_f32_16x16x32_fp8_fp8 v[136:139], a[98:99], a[170:171], v[136:139]// 00000000FA2C: D3F30088 1E235562
	v_mfma_f32_16x16x32_fp8_fp8 v[140:143], a[96:97], a[184:185], 0// 00000000FA34: D3F3008C 1A037160
	v_mfma_f32_16x16x32_fp8_fp8 v[140:143], a[98:99], a[186:187], v[140:143]// 00000000FA3C: D3F3008C 1E337562
	v_mfma_f32_16x16x32_fp8_fp8 v[144:147], a[100:101], a[136:137], 0// 00000000FA44: D3F30090 1A031164
	v_mfma_f32_16x16x32_fp8_fp8 v[144:147], a[102:103], a[138:139], v[144:147]// 00000000FA4C: D3F30090 1E431566
	v_mfma_f32_16x16x32_fp8_fp8 v[148:151], a[100:101], a[152:153], 0// 00000000FA54: D3F30094 1A033164
	v_mfma_f32_16x16x32_fp8_fp8 v[148:151], a[102:103], a[154:155], v[148:151]// 00000000FA5C: D3F30094 1E533566
	v_mfma_f32_16x16x32_fp8_fp8 v[152:155], a[100:101], a[168:169], 0// 00000000FA64: D3F30098 1A035164
	v_mfma_f32_16x16x32_fp8_fp8 v[152:155], a[102:103], a[170:171], v[152:155]// 00000000FA6C: D3F30098 1E635566
	v_mfma_f32_16x16x32_fp8_fp8 v[156:159], a[100:101], a[184:185], 0// 00000000FA74: D3F3009C 1A037164
	v_mfma_f32_16x16x32_fp8_fp8 v[156:159], a[102:103], a[186:187], v[156:159]// 00000000FA7C: D3F3009C 1E737566
	s_waitcnt vmcnt(13)                                        // 00000000FA84: BF8C0F7D
	v_mfma_f32_16x16x32_fp8_fp8 v[160:163], a[104:105], a[136:137], 0// 00000000FA88: D3F300A0 1A031168
	v_mfma_f32_16x16x32_fp8_fp8 v[160:163], a[106:107], a[138:139], v[160:163]// 00000000FA90: D3F300A0 1E83156A
	v_mfma_f32_16x16x32_fp8_fp8 v[164:167], a[104:105], a[152:153], 0// 00000000FA98: D3F300A4 1A033168
	v_mfma_f32_16x16x32_fp8_fp8 v[164:167], a[106:107], a[154:155], v[164:167]// 00000000FAA0: D3F300A4 1E93356A
	v_mfma_f32_16x16x32_fp8_fp8 v[168:171], a[104:105], a[168:169], 0// 00000000FAA8: D3F300A8 1A035168
	v_mfma_f32_16x16x32_fp8_fp8 v[168:171], a[106:107], a[170:171], v[168:171]// 00000000FAB0: D3F300A8 1EA3556A
	v_mfma_f32_16x16x32_fp8_fp8 v[172:175], a[104:105], a[184:185], 0// 00000000FAB8: D3F300AC 1A037168
	v_mfma_f32_16x16x32_fp8_fp8 v[172:175], a[106:107], a[186:187], v[172:175]// 00000000FAC0: D3F300AC 1EB3756A
	v_mfma_f32_16x16x32_fp8_fp8 v[176:179], a[108:109], a[136:137], 0// 00000000FAC8: D3F300B0 1A03116C
	v_mfma_f32_16x16x32_fp8_fp8 v[176:179], a[110:111], a[138:139], v[176:179]// 00000000FAD0: D3F300B0 1EC3156E
	v_mfma_f32_16x16x32_fp8_fp8 v[180:183], a[108:109], a[152:153], 0// 00000000FAD8: D3F300B4 1A03316C
	v_mfma_f32_16x16x32_fp8_fp8 v[180:183], a[110:111], a[154:155], v[180:183]// 00000000FAE0: D3F300B4 1ED3356E
	v_mfma_f32_16x16x32_fp8_fp8 v[184:187], a[108:109], a[168:169], 0// 00000000FAE8: D3F300B8 1A03516C
	v_mfma_f32_16x16x32_fp8_fp8 v[184:187], a[110:111], a[170:171], v[184:187]// 00000000FAF0: D3F300B8 1EE3556E
	v_mfma_f32_16x16x32_fp8_fp8 v[188:191], a[108:109], a[184:185], 0// 00000000FAF8: D3F300BC 1A03716C
	v_mfma_f32_16x16x32_fp8_fp8 v[188:191], a[110:111], a[186:187], v[188:191]// 00000000FB00: D3F300BC 1EF3756E
	s_waitcnt vmcnt(13)                                        // 00000000FB08: BF8C0F7D
	v_mfma_f32_16x16x32_fp8_fp8 v[128:131], a[112:113], a[140:141], v[128:131]// 00000000FB0C: D3F30080 1E031970
	v_mfma_f32_16x16x32_fp8_fp8 v[128:131], a[114:115], a[142:143], v[128:131]// 00000000FB14: D3F30080 1E031D72
	v_mfma_f32_16x16x32_fp8_fp8 v[132:135], a[112:113], a[156:157], v[132:135]// 00000000FB1C: D3F30084 1E133970
	v_mfma_f32_16x16x32_fp8_fp8 v[132:135], a[114:115], a[158:159], v[132:135]// 00000000FB24: D3F30084 1E133D72
	v_mfma_f32_16x16x32_fp8_fp8 v[136:139], a[112:113], a[172:173], v[136:139]// 00000000FB2C: D3F30088 1E235970
	v_mfma_f32_16x16x32_fp8_fp8 v[136:139], a[114:115], a[174:175], v[136:139]// 00000000FB34: D3F30088 1E235D72
	v_mfma_f32_16x16x32_fp8_fp8 v[140:143], a[112:113], a[188:189], v[140:143]// 00000000FB3C: D3F3008C 1E337970
	v_mfma_f32_16x16x32_fp8_fp8 v[140:143], a[114:115], a[190:191], v[140:143]// 00000000FB44: D3F3008C 1E337D72
	v_mfma_f32_16x16x32_fp8_fp8 v[144:147], a[116:117], a[140:141], v[144:147]// 00000000FB4C: D3F30090 1E431974
	v_mfma_f32_16x16x32_fp8_fp8 v[144:147], a[118:119], a[142:143], v[144:147]// 00000000FB54: D3F30090 1E431D76
	v_mfma_f32_16x16x32_fp8_fp8 v[148:151], a[116:117], a[156:157], v[148:151]// 00000000FB5C: D3F30094 1E533974
	v_mfma_f32_16x16x32_fp8_fp8 v[148:151], a[118:119], a[158:159], v[148:151]// 00000000FB64: D3F30094 1E533D76
	v_mfma_f32_16x16x32_fp8_fp8 v[152:155], a[116:117], a[172:173], v[152:155]// 00000000FB6C: D3F30098 1E635974
	v_mfma_f32_16x16x32_fp8_fp8 v[152:155], a[118:119], a[174:175], v[152:155]// 00000000FB74: D3F30098 1E635D76
	v_mfma_f32_16x16x32_fp8_fp8 v[156:159], a[116:117], a[188:189], v[156:159]// 00000000FB7C: D3F3009C 1E737974
	v_mfma_f32_16x16x32_fp8_fp8 v[156:159], a[118:119], a[190:191], v[156:159]// 00000000FB84: D3F3009C 1E737D76
	s_waitcnt vmcnt(13)                                        // 00000000FB8C: BF8C0F7D
	v_mfma_f32_16x16x32_fp8_fp8 v[160:163], a[120:121], a[140:141], v[160:163]// 00000000FB90: D3F300A0 1E831978
	v_mfma_f32_16x16x32_fp8_fp8 v[160:163], a[122:123], a[142:143], v[160:163]// 00000000FB98: D3F300A0 1E831D7A
	v_mfma_f32_16x16x32_fp8_fp8 v[164:167], a[120:121], a[156:157], v[164:167]// 00000000FBA0: D3F300A4 1E933978
	v_mfma_f32_16x16x32_fp8_fp8 v[164:167], a[122:123], a[158:159], v[164:167]// 00000000FBA8: D3F300A4 1E933D7A
	v_mfma_f32_16x16x32_fp8_fp8 v[168:171], a[120:121], a[172:173], v[168:171]// 00000000FBB0: D3F300A8 1EA35978
	v_mfma_f32_16x16x32_fp8_fp8 v[168:171], a[122:123], a[174:175], v[168:171]// 00000000FBB8: D3F300A8 1EA35D7A
	v_mfma_f32_16x16x32_fp8_fp8 v[172:175], a[120:121], a[188:189], v[172:175]// 00000000FBC0: D3F300AC 1EB37978
	v_mfma_f32_16x16x32_fp8_fp8 v[172:175], a[122:123], a[190:191], v[172:175]// 00000000FBC8: D3F300AC 1EB37D7A
	v_mfma_f32_16x16x32_fp8_fp8 v[176:179], a[124:125], a[140:141], v[176:179]// 00000000FBD0: D3F300B0 1EC3197C
	v_mfma_f32_16x16x32_fp8_fp8 v[176:179], a[126:127], a[142:143], v[176:179]// 00000000FBD8: D3F300B0 1EC31D7E
	v_mfma_f32_16x16x32_fp8_fp8 v[180:183], a[124:125], a[156:157], v[180:183]// 00000000FBE0: D3F300B4 1ED3397C
	v_mfma_f32_16x16x32_fp8_fp8 v[180:183], a[126:127], a[158:159], v[180:183]// 00000000FBE8: D3F300B4 1ED33D7E
	v_mfma_f32_16x16x32_fp8_fp8 v[184:187], a[124:125], a[172:173], v[184:187]// 00000000FBF0: D3F300B8 1EE3597C
	v_mfma_f32_16x16x32_fp8_fp8 v[184:187], a[126:127], a[174:175], v[184:187]// 00000000FBF8: D3F300B8 1EE35D7E
	v_mfma_f32_16x16x32_fp8_fp8 v[188:191], a[124:125], a[188:189], v[188:191]// 00000000FC00: D3F300BC 1EF3797C
	v_mfma_f32_16x16x32_fp8_fp8 v[188:191], a[126:127], a[190:191], v[188:191]// 00000000FC08: D3F300BC 1EF37D7E
	v_mul_f32_dpp v60, v38, v25 row_newbcast:2 row_mask:0xf bank_mask:0xf// 00000000FC10: 0A7832FA FF015226
	v_mov_b32_e32 v61, v60                                     // 00000000FC18: 7E7A033C
	v_pk_fma_f32 v[192:193], v[128:129], v[60:61], v[192:193]  // 00000000FC1C: D3B040C0 1F027980
	v_pk_fma_f32 v[194:195], v[130:131], v[60:61], v[194:195]  // 00000000FC24: D3B040C2 1F0A7982
	v_pk_fma_f32 v[208:209], v[144:145], v[60:61], v[208:209]  // 00000000FC2C: D3B040D0 1F427990
	v_pk_fma_f32 v[210:211], v[146:147], v[60:61], v[210:211]  // 00000000FC34: D3B040D2 1F4A7992
	v_mul_f32_dpp v60, v38, v25 row_newbcast:3 row_mask:0xf bank_mask:0xf// 00000000FC3C: 0A7832FA FF015326
	v_mov_b32_e32 v61, v60                                     // 00000000FC44: 7E7A033C
	v_pk_fma_f32 v[224:225], v[160:161], v[60:61], v[224:225]  // 00000000FC48: D3B040E0 1F8279A0
	v_pk_fma_f32 v[226:227], v[162:163], v[60:61], v[226:227]  // 00000000FC50: D3B040E2 1F8A79A2
	v_pk_fma_f32 v[240:241], v[176:177], v[60:61], v[240:241]  // 00000000FC58: D3B040F0 1FC279B0
	v_pk_fma_f32 v[242:243], v[178:179], v[60:61], v[242:243]  // 00000000FC60: D3B040F2 1FCA79B2
	v_mul_f32_dpp v60, v38, v26 row_newbcast:2 row_mask:0xf bank_mask:0xf// 00000000FC68: 0A7834FA FF015226
	v_mov_b32_e32 v61, v60                                     // 00000000FC70: 7E7A033C
	v_pk_fma_f32 v[196:197], v[132:133], v[60:61], v[196:197]  // 00000000FC74: D3B040C4 1F127984
	v_pk_fma_f32 v[198:199], v[134:135], v[60:61], v[198:199]  // 00000000FC7C: D3B040C6 1F1A7986
	v_pk_fma_f32 v[212:213], v[148:149], v[60:61], v[212:213]  // 00000000FC84: D3B040D4 1F527994
	v_pk_fma_f32 v[214:215], v[150:151], v[60:61], v[214:215]  // 00000000FC8C: D3B040D6 1F5A7996
	v_mul_f32_dpp v60, v38, v26 row_newbcast:3 row_mask:0xf bank_mask:0xf// 00000000FC94: 0A7834FA FF015326
	v_mov_b32_e32 v61, v60                                     // 00000000FC9C: 7E7A033C
	v_pk_fma_f32 v[228:229], v[164:165], v[60:61], v[228:229]  // 00000000FCA0: D3B040E4 1F9279A4
	v_pk_fma_f32 v[230:231], v[166:167], v[60:61], v[230:231]  // 00000000FCA8: D3B040E6 1F9A79A6
	v_pk_fma_f32 v[244:245], v[180:181], v[60:61], v[244:245]  // 00000000FCB0: D3B040F4 1FD279B4
	v_pk_fma_f32 v[246:247], v[182:183], v[60:61], v[246:247]  // 00000000FCB8: D3B040F6 1FDA79B6
	v_mul_f32_dpp v60, v38, v27 row_newbcast:2 row_mask:0xf bank_mask:0xf// 00000000FCC0: 0A7836FA FF015226
	v_mov_b32_e32 v61, v60                                     // 00000000FCC8: 7E7A033C
	v_pk_fma_f32 v[200:201], v[136:137], v[60:61], v[200:201]  // 00000000FCCC: D3B040C8 1F227988
	v_pk_fma_f32 v[202:203], v[138:139], v[60:61], v[202:203]  // 00000000FCD4: D3B040CA 1F2A798A
	v_pk_fma_f32 v[216:217], v[152:153], v[60:61], v[216:217]  // 00000000FCDC: D3B040D8 1F627998
	v_pk_fma_f32 v[218:219], v[154:155], v[60:61], v[218:219]  // 00000000FCE4: D3B040DA 1F6A799A
	v_mul_f32_dpp v60, v38, v27 row_newbcast:3 row_mask:0xf bank_mask:0xf// 00000000FCEC: 0A7836FA FF015326
	v_mov_b32_e32 v61, v60                                     // 00000000FCF4: 7E7A033C
	v_pk_fma_f32 v[232:233], v[168:169], v[60:61], v[232:233]  // 00000000FCF8: D3B040E8 1FA279A8
	v_pk_fma_f32 v[234:235], v[170:171], v[60:61], v[234:235]  // 00000000FD00: D3B040EA 1FAA79AA
	v_pk_fma_f32 v[248:249], v[184:185], v[60:61], v[248:249]  // 00000000FD08: D3B040F8 1FE279B8
	v_pk_fma_f32 v[250:251], v[186:187], v[60:61], v[250:251]  // 00000000FD10: D3B040FA 1FEA79BA
	v_mul_f32_dpp v60, v38, v28 row_newbcast:2 row_mask:0xf bank_mask:0xf// 00000000FD18: 0A7838FA FF015226
	v_mov_b32_e32 v61, v60                                     // 00000000FD20: 7E7A033C
	v_pk_fma_f32 v[204:205], v[140:141], v[60:61], v[204:205]  // 00000000FD24: D3B040CC 1F32798C
	v_pk_fma_f32 v[206:207], v[142:143], v[60:61], v[206:207]  // 00000000FD2C: D3B040CE 1F3A798E
	v_pk_fma_f32 v[220:221], v[156:157], v[60:61], v[220:221]  // 00000000FD34: D3B040DC 1F72799C
	v_pk_fma_f32 v[222:223], v[158:159], v[60:61], v[222:223]  // 00000000FD3C: D3B040DE 1F7A799E
	v_mul_f32_dpp v60, v38, v28 row_newbcast:3 row_mask:0xf bank_mask:0xf// 00000000FD44: 0A7838FA FF015326
	v_mov_b32_e32 v61, v60                                     // 00000000FD4C: 7E7A033C
	v_pk_fma_f32 v[236:237], v[172:173], v[60:61], v[236:237]  // 00000000FD50: D3B040EC 1FB279AC
	v_pk_fma_f32 v[238:239], v[174:175], v[60:61], v[238:239]  // 00000000FD58: D3B040EE 1FBA79AE
	v_pk_fma_f32 v[252:253], v[188:189], v[60:61], v[252:253]  // 00000000FD60: D3B040FC 1FF279BC
	v_pk_fma_f32 v[254:255], v[190:191], v[60:61], v[254:255]  // 00000000FD68: D3B040FE 1FFA79BE
	s_add_u32 s56, 0x200, s76                                  // 00000000FD70: 80384CFF 00000200
	s_cmp_lt_u32 s56, s77                                      // 00000000FD78: BF0A4D38
	s_cselect_b32 s52, s52, 0                                  // 00000000FD7C: 85348034
	s_cselect_b32 s74, s74, 0                                  // 00000000FD80: 854A804A
	s_cselect_b32 s75, s75, 0                                  // 00000000FD84: 854B804B
	s_add_u32 s12, s52, s12                                    // 00000000FD88: 800C0C34
	s_addc_u32 s13, 0, s13                                     // 00000000FD8C: 820D0D80
	s_add_u32 s16, s75, s16                                    // 00000000FD90: 8010104B
	s_addc_u32 s17, 0, s17                                     // 00000000FD94: 82111180
	v_mov_b32_e32 v60, v39                                     // 00000000FD98: 7E780327
	v_mov_b32_e32 v61, v39                                     // 00000000FD9C: 7E7A0327
	v_pk_mul_f32 v[192:193], v[60:61], v[192:193]              // 00000000FDA0: D3B140C0 1803813C
	v_pk_mul_f32 v[194:195], v[60:61], v[194:195]              // 00000000FDA8: D3B140C2 1803853C
	v_pk_mul_f32 v[208:209], v[60:61], v[208:209]              // 00000000FDB0: D3B140D0 1803A13C
	v_pk_mul_f32 v[210:211], v[60:61], v[210:211]              // 00000000FDB8: D3B140D2 1803A53C
	v_pk_mul_f32 v[224:225], v[60:61], v[224:225]              // 00000000FDC0: D3B140E0 1803C13C
	v_pk_mul_f32 v[226:227], v[60:61], v[226:227]              // 00000000FDC8: D3B140E2 1803C53C
	v_pk_mul_f32 v[240:241], v[60:61], v[240:241]              // 00000000FDD0: D3B140F0 1803E13C
	v_pk_mul_f32 v[242:243], v[60:61], v[242:243]              // 00000000FDD8: D3B140F2 1803E53C
	v_mov_b32_e32 v60, v40                                     // 00000000FDE0: 7E780328
	v_mov_b32_e32 v61, v40                                     // 00000000FDE4: 7E7A0328
	v_pk_mul_f32 v[196:197], v[60:61], v[196:197]              // 00000000FDE8: D3B140C4 1803893C
	v_pk_mul_f32 v[198:199], v[60:61], v[198:199]              // 00000000FDF0: D3B140C6 18038D3C
	v_pk_mul_f32 v[212:213], v[60:61], v[212:213]              // 00000000FDF8: D3B140D4 1803A93C
	v_pk_mul_f32 v[214:215], v[60:61], v[214:215]              // 00000000FE00: D3B140D6 1803AD3C
	v_pk_mul_f32 v[228:229], v[60:61], v[228:229]              // 00000000FE08: D3B140E4 1803C93C
	v_pk_mul_f32 v[230:231], v[60:61], v[230:231]              // 00000000FE10: D3B140E6 1803CD3C
	v_pk_mul_f32 v[244:245], v[60:61], v[244:245]              // 00000000FE18: D3B140F4 1803E93C
	v_pk_mul_f32 v[246:247], v[60:61], v[246:247]              // 00000000FE20: D3B140F6 1803ED3C
	v_mov_b32_e32 v60, v41                                     // 00000000FE28: 7E780329
	v_mov_b32_e32 v61, v41                                     // 00000000FE2C: 7E7A0329
	v_pk_mul_f32 v[200:201], v[60:61], v[200:201]              // 00000000FE30: D3B140C8 1803913C
	v_pk_mul_f32 v[202:203], v[60:61], v[202:203]              // 00000000FE38: D3B140CA 1803953C
	v_pk_mul_f32 v[216:217], v[60:61], v[216:217]              // 00000000FE40: D3B140D8 1803B13C
	v_pk_mul_f32 v[218:219], v[60:61], v[218:219]              // 00000000FE48: D3B140DA 1803B53C
	v_pk_mul_f32 v[232:233], v[60:61], v[232:233]              // 00000000FE50: D3B140E8 1803D13C
	v_pk_mul_f32 v[234:235], v[60:61], v[234:235]              // 00000000FE58: D3B140EA 1803D53C
	v_pk_mul_f32 v[248:249], v[60:61], v[248:249]              // 00000000FE60: D3B140F8 1803F13C
	v_pk_mul_f32 v[250:251], v[60:61], v[250:251]              // 00000000FE68: D3B140FA 1803F53C
	v_mov_b32_e32 v60, v42                                     // 00000000FE70: 7E78032A
	v_mov_b32_e32 v61, v42                                     // 00000000FE74: 7E7A032A
	v_pk_mul_f32 v[204:205], v[60:61], v[204:205]              // 00000000FE78: D3B140CC 1803993C
	v_pk_mul_f32 v[206:207], v[60:61], v[206:207]              // 00000000FE80: D3B140CE 18039D3C
	v_pk_mul_f32 v[220:221], v[60:61], v[220:221]              // 00000000FE88: D3B140DC 1803B93C
	v_pk_mul_f32 v[222:223], v[60:61], v[222:223]              // 00000000FE90: D3B140DE 1803BD3C
	v_pk_mul_f32 v[236:237], v[60:61], v[236:237]              // 00000000FE98: D3B140EC 1803D93C
	v_pk_mul_f32 v[238:239], v[60:61], v[238:239]              // 00000000FEA0: D3B140EE 1803DD3C
	v_pk_mul_f32 v[252:253], v[60:61], v[252:253]              // 00000000FEA8: D3B140FC 1803F93C
	v_pk_mul_f32 v[254:255], v[60:61], v[254:255]              // 00000000FEB0: D3B140FE 1803FD3C
	s_mov_b32 s56, 0x7060302                                   // 00000000FEB8: BEB800FF 07060302
	v_cmp_u_f32_e64 s[48:49], v192, v192                       // 00000000FEC0: D0480030 000381C0
	v_add3_u32 v55, v192, v58, 1                               // 00000000FEC8: D1FF0037 020675C0
	v_cndmask_b32_e64 v60, v55, v57, s[48:49]                  // 00000000FED0: D100003C 00C27337
	v_cmp_u_f32_e64 s[48:49], v193, v193                       // 00000000FED8: D0480030 000383C1
	v_add3_u32 v55, v193, v58, 1                               // 00000000FEE0: D1FF0037 020675C1
	v_cndmask_b32_e64 v61, v55, v57, s[48:49]                  // 00000000FEE8: D100003D 00C27337
	v_perm_b32 v192, v61, v60, s56                             // 00000000FEF0: D1ED00C0 00E2793D
	s_mov_b32 s56, 0x7060302                                   // 00000000FEF8: BEB800FF 07060302
	v_cmp_u_f32_e64 s[48:49], v194, v194                       // 00000000FF00: D0480030 000385C2
	v_add3_u32 v55, v194, v58, 1                               // 00000000FF08: D1FF0037 020675C2
	v_cndmask_b32_e64 v60, v55, v57, s[48:49]                  // 00000000FF10: D100003C 00C27337
	v_cmp_u_f32_e64 s[48:49], v195, v195                       // 00000000FF18: D0480030 000387C3
	v_add3_u32 v55, v195, v58, 1                               // 00000000FF20: D1FF0037 020675C3
	v_cndmask_b32_e64 v61, v55, v57, s[48:49]                  // 00000000FF28: D100003D 00C27337
	v_perm_b32 v193, v61, v60, s56                             // 00000000FF30: D1ED00C1 00E2793D
	s_mov_b32 s56, 0x7060302                                   // 00000000FF38: BEB800FF 07060302
	v_cmp_u_f32_e64 s[48:49], v196, v196                       // 00000000FF40: D0480030 000389C4
	v_add3_u32 v55, v196, v58, 1                               // 00000000FF48: D1FF0037 020675C4
	v_cndmask_b32_e64 v60, v55, v57, s[48:49]                  // 00000000FF50: D100003C 00C27337
	v_cmp_u_f32_e64 s[48:49], v197, v197                       // 00000000FF58: D0480030 00038BC5
	v_add3_u32 v55, v197, v58, 1                               // 00000000FF60: D1FF0037 020675C5
	v_cndmask_b32_e64 v61, v55, v57, s[48:49]                  // 00000000FF68: D100003D 00C27337
	v_perm_b32 v194, v61, v60, s56                             // 00000000FF70: D1ED00C2 00E2793D
	s_mov_b32 s56, 0x7060302                                   // 00000000FF78: BEB800FF 07060302
	v_cmp_u_f32_e64 s[48:49], v198, v198                       // 00000000FF80: D0480030 00038DC6
	v_add3_u32 v55, v198, v58, 1                               // 00000000FF88: D1FF0037 020675C6
	v_cndmask_b32_e64 v60, v55, v57, s[48:49]                  // 00000000FF90: D100003C 00C27337
	v_cmp_u_f32_e64 s[48:49], v199, v199                       // 00000000FF98: D0480030 00038FC7
	v_add3_u32 v55, v199, v58, 1                               // 00000000FFA0: D1FF0037 020675C7
	v_cndmask_b32_e64 v61, v55, v57, s[48:49]                  // 00000000FFA8: D100003D 00C27337
	v_perm_b32 v195, v61, v60, s56                             // 00000000FFB0: D1ED00C3 00E2793D
	s_mov_b32 s56, 0x7060302                                   // 00000000FFB8: BEB800FF 07060302
	v_cmp_u_f32_e64 s[48:49], v200, v200                       // 00000000FFC0: D0480030 000391C8
	v_add3_u32 v55, v200, v58, 1                               // 00000000FFC8: D1FF0037 020675C8
	v_cndmask_b32_e64 v60, v55, v57, s[48:49]                  // 00000000FFD0: D100003C 00C27337
	v_cmp_u_f32_e64 s[48:49], v201, v201                       // 00000000FFD8: D0480030 000393C9
	v_add3_u32 v55, v201, v58, 1                               // 00000000FFE0: D1FF0037 020675C9
	v_cndmask_b32_e64 v61, v55, v57, s[48:49]                  // 00000000FFE8: D100003D 00C27337
	v_perm_b32 v196, v61, v60, s56                             // 00000000FFF0: D1ED00C4 00E2793D
	s_mov_b32 s56, 0x7060302                                   // 00000000FFF8: BEB800FF 07060302
	v_cmp_u_f32_e64 s[48:49], v202, v202                       // 000000010000: D0480030 000395CA
	v_add3_u32 v55, v202, v58, 1                               // 000000010008: D1FF0037 020675CA
	v_cndmask_b32_e64 v60, v55, v57, s[48:49]                  // 000000010010: D100003C 00C27337
	v_cmp_u_f32_e64 s[48:49], v203, v203                       // 000000010018: D0480030 000397CB
	v_add3_u32 v55, v203, v58, 1                               // 000000010020: D1FF0037 020675CB
	v_cndmask_b32_e64 v61, v55, v57, s[48:49]                  // 000000010028: D100003D 00C27337
	v_perm_b32 v197, v61, v60, s56                             // 000000010030: D1ED00C5 00E2793D
	s_mov_b32 s56, 0x7060302                                   // 000000010038: BEB800FF 07060302
	v_cmp_u_f32_e64 s[48:49], v204, v204                       // 000000010040: D0480030 000399CC
	v_add3_u32 v55, v204, v58, 1                               // 000000010048: D1FF0037 020675CC
	v_cndmask_b32_e64 v60, v55, v57, s[48:49]                  // 000000010050: D100003C 00C27337
	v_cmp_u_f32_e64 s[48:49], v205, v205                       // 000000010058: D0480030 00039BCD
	v_add3_u32 v55, v205, v58, 1                               // 000000010060: D1FF0037 020675CD
	v_cndmask_b32_e64 v61, v55, v57, s[48:49]                  // 000000010068: D100003D 00C27337
	v_perm_b32 v198, v61, v60, s56                             // 000000010070: D1ED00C6 00E2793D
	s_mov_b32 s56, 0x7060302                                   // 000000010078: BEB800FF 07060302
	v_cmp_u_f32_e64 s[48:49], v206, v206                       // 000000010080: D0480030 00039DCE
	v_add3_u32 v55, v206, v58, 1                               // 000000010088: D1FF0037 020675CE
	v_cndmask_b32_e64 v60, v55, v57, s[48:49]                  // 000000010090: D100003C 00C27337
	v_cmp_u_f32_e64 s[48:49], v207, v207                       // 000000010098: D0480030 00039FCF
	v_add3_u32 v55, v207, v58, 1                               // 0000000100A0: D1FF0037 020675CF
	v_cndmask_b32_e64 v61, v55, v57, s[48:49]                  // 0000000100A8: D100003D 00C27337
	v_perm_b32 v199, v61, v60, s56                             // 0000000100B0: D1ED00C7 00E2793D
	s_mov_b32 s56, 0x7060302                                   // 0000000100B8: BEB800FF 07060302
	v_cmp_u_f32_e64 s[48:49], v208, v208                       // 0000000100C0: D0480030 0003A1D0
	v_add3_u32 v55, v208, v58, 1                               // 0000000100C8: D1FF0037 020675D0
	v_cndmask_b32_e64 v60, v55, v57, s[48:49]                  // 0000000100D0: D100003C 00C27337
	v_cmp_u_f32_e64 s[48:49], v209, v209                       // 0000000100D8: D0480030 0003A3D1
	v_add3_u32 v55, v209, v58, 1                               // 0000000100E0: D1FF0037 020675D1
	v_cndmask_b32_e64 v61, v55, v57, s[48:49]                  // 0000000100E8: D100003D 00C27337
	v_perm_b32 v200, v61, v60, s56                             // 0000000100F0: D1ED00C8 00E2793D
	s_mov_b32 s56, 0x7060302                                   // 0000000100F8: BEB800FF 07060302
	v_cmp_u_f32_e64 s[48:49], v210, v210                       // 000000010100: D0480030 0003A5D2
	v_add3_u32 v55, v210, v58, 1                               // 000000010108: D1FF0037 020675D2
	v_cndmask_b32_e64 v60, v55, v57, s[48:49]                  // 000000010110: D100003C 00C27337
	v_cmp_u_f32_e64 s[48:49], v211, v211                       // 000000010118: D0480030 0003A7D3
	v_add3_u32 v55, v211, v58, 1                               // 000000010120: D1FF0037 020675D3
	v_cndmask_b32_e64 v61, v55, v57, s[48:49]                  // 000000010128: D100003D 00C27337
	v_perm_b32 v201, v61, v60, s56                             // 000000010130: D1ED00C9 00E2793D
	s_mov_b32 s56, 0x7060302                                   // 000000010138: BEB800FF 07060302
	v_cmp_u_f32_e64 s[48:49], v212, v212                       // 000000010140: D0480030 0003A9D4
	v_add3_u32 v55, v212, v58, 1                               // 000000010148: D1FF0037 020675D4
	v_cndmask_b32_e64 v60, v55, v57, s[48:49]                  // 000000010150: D100003C 00C27337
	v_cmp_u_f32_e64 s[48:49], v213, v213                       // 000000010158: D0480030 0003ABD5
	v_add3_u32 v55, v213, v58, 1                               // 000000010160: D1FF0037 020675D5
	v_cndmask_b32_e64 v61, v55, v57, s[48:49]                  // 000000010168: D100003D 00C27337
	v_perm_b32 v202, v61, v60, s56                             // 000000010170: D1ED00CA 00E2793D
	s_mov_b32 s56, 0x7060302                                   // 000000010178: BEB800FF 07060302
	v_cmp_u_f32_e64 s[48:49], v214, v214                       // 000000010180: D0480030 0003ADD6
	v_add3_u32 v55, v214, v58, 1                               // 000000010188: D1FF0037 020675D6
	v_cndmask_b32_e64 v60, v55, v57, s[48:49]                  // 000000010190: D100003C 00C27337
	v_cmp_u_f32_e64 s[48:49], v215, v215                       // 000000010198: D0480030 0003AFD7
	v_add3_u32 v55, v215, v58, 1                               // 0000000101A0: D1FF0037 020675D7
	v_cndmask_b32_e64 v61, v55, v57, s[48:49]                  // 0000000101A8: D100003D 00C27337
	v_perm_b32 v203, v61, v60, s56                             // 0000000101B0: D1ED00CB 00E2793D
	s_mov_b32 s56, 0x7060302                                   // 0000000101B8: BEB800FF 07060302
	v_cmp_u_f32_e64 s[48:49], v216, v216                       // 0000000101C0: D0480030 0003B1D8
	v_add3_u32 v55, v216, v58, 1                               // 0000000101C8: D1FF0037 020675D8
	v_cndmask_b32_e64 v60, v55, v57, s[48:49]                  // 0000000101D0: D100003C 00C27337
	v_cmp_u_f32_e64 s[48:49], v217, v217                       // 0000000101D8: D0480030 0003B3D9
	v_add3_u32 v55, v217, v58, 1                               // 0000000101E0: D1FF0037 020675D9
	v_cndmask_b32_e64 v61, v55, v57, s[48:49]                  // 0000000101E8: D100003D 00C27337
	v_perm_b32 v204, v61, v60, s56                             // 0000000101F0: D1ED00CC 00E2793D
	s_mov_b32 s56, 0x7060302                                   // 0000000101F8: BEB800FF 07060302
	v_cmp_u_f32_e64 s[48:49], v218, v218                       // 000000010200: D0480030 0003B5DA
	v_add3_u32 v55, v218, v58, 1                               // 000000010208: D1FF0037 020675DA
	v_cndmask_b32_e64 v60, v55, v57, s[48:49]                  // 000000010210: D100003C 00C27337
	v_cmp_u_f32_e64 s[48:49], v219, v219                       // 000000010218: D0480030 0003B7DB
	v_add3_u32 v55, v219, v58, 1                               // 000000010220: D1FF0037 020675DB
	v_cndmask_b32_e64 v61, v55, v57, s[48:49]                  // 000000010228: D100003D 00C27337
	v_perm_b32 v205, v61, v60, s56                             // 000000010230: D1ED00CD 00E2793D
	s_mov_b32 s56, 0x7060302                                   // 000000010238: BEB800FF 07060302
	v_cmp_u_f32_e64 s[48:49], v220, v220                       // 000000010240: D0480030 0003B9DC
	v_add3_u32 v55, v220, v58, 1                               // 000000010248: D1FF0037 020675DC
	v_cndmask_b32_e64 v60, v55, v57, s[48:49]                  // 000000010250: D100003C 00C27337
	v_cmp_u_f32_e64 s[48:49], v221, v221                       // 000000010258: D0480030 0003BBDD
	v_add3_u32 v55, v221, v58, 1                               // 000000010260: D1FF0037 020675DD
	v_cndmask_b32_e64 v61, v55, v57, s[48:49]                  // 000000010268: D100003D 00C27337
	v_perm_b32 v206, v61, v60, s56                             // 000000010270: D1ED00CE 00E2793D
	s_mov_b32 s56, 0x7060302                                   // 000000010278: BEB800FF 07060302
	v_cmp_u_f32_e64 s[48:49], v222, v222                       // 000000010280: D0480030 0003BDDE
	v_add3_u32 v55, v222, v58, 1                               // 000000010288: D1FF0037 020675DE
	v_cndmask_b32_e64 v60, v55, v57, s[48:49]                  // 000000010290: D100003C 00C27337
	v_cmp_u_f32_e64 s[48:49], v223, v223                       // 000000010298: D0480030 0003BFDF
	v_add3_u32 v55, v223, v58, 1                               // 0000000102A0: D1FF0037 020675DF
	v_cndmask_b32_e64 v61, v55, v57, s[48:49]                  // 0000000102A8: D100003D 00C27337
	v_perm_b32 v207, v61, v60, s56                             // 0000000102B0: D1ED00CF 00E2793D
	s_mov_b32 s56, 0x7060302                                   // 0000000102B8: BEB800FF 07060302
	v_cmp_u_f32_e64 s[48:49], v224, v224                       // 0000000102C0: D0480030 0003C1E0
	v_add3_u32 v55, v224, v58, 1                               // 0000000102C8: D1FF0037 020675E0
	v_cndmask_b32_e64 v60, v55, v57, s[48:49]                  // 0000000102D0: D100003C 00C27337
	v_cmp_u_f32_e64 s[48:49], v225, v225                       // 0000000102D8: D0480030 0003C3E1
	v_add3_u32 v55, v225, v58, 1                               // 0000000102E0: D1FF0037 020675E1
	v_cndmask_b32_e64 v61, v55, v57, s[48:49]                  // 0000000102E8: D100003D 00C27337
	v_perm_b32 v208, v61, v60, s56                             // 0000000102F0: D1ED00D0 00E2793D
	s_mov_b32 s56, 0x7060302                                   // 0000000102F8: BEB800FF 07060302
	v_cmp_u_f32_e64 s[48:49], v226, v226                       // 000000010300: D0480030 0003C5E2
	v_add3_u32 v55, v226, v58, 1                               // 000000010308: D1FF0037 020675E2
	v_cndmask_b32_e64 v60, v55, v57, s[48:49]                  // 000000010310: D100003C 00C27337
	v_cmp_u_f32_e64 s[48:49], v227, v227                       // 000000010318: D0480030 0003C7E3
	v_add3_u32 v55, v227, v58, 1                               // 000000010320: D1FF0037 020675E3
	v_cndmask_b32_e64 v61, v55, v57, s[48:49]                  // 000000010328: D100003D 00C27337
	v_perm_b32 v209, v61, v60, s56                             // 000000010330: D1ED00D1 00E2793D
	s_mov_b32 s56, 0x7060302                                   // 000000010338: BEB800FF 07060302
	v_cmp_u_f32_e64 s[48:49], v228, v228                       // 000000010340: D0480030 0003C9E4
	v_add3_u32 v55, v228, v58, 1                               // 000000010348: D1FF0037 020675E4
	v_cndmask_b32_e64 v60, v55, v57, s[48:49]                  // 000000010350: D100003C 00C27337
	v_cmp_u_f32_e64 s[48:49], v229, v229                       // 000000010358: D0480030 0003CBE5
	v_add3_u32 v55, v229, v58, 1                               // 000000010360: D1FF0037 020675E5
	v_cndmask_b32_e64 v61, v55, v57, s[48:49]                  // 000000010368: D100003D 00C27337
	v_perm_b32 v210, v61, v60, s56                             // 000000010370: D1ED00D2 00E2793D
	s_mov_b32 s56, 0x7060302                                   // 000000010378: BEB800FF 07060302
	v_cmp_u_f32_e64 s[48:49], v230, v230                       // 000000010380: D0480030 0003CDE6
	v_add3_u32 v55, v230, v58, 1                               // 000000010388: D1FF0037 020675E6
	v_cndmask_b32_e64 v60, v55, v57, s[48:49]                  // 000000010390: D100003C 00C27337
	v_cmp_u_f32_e64 s[48:49], v231, v231                       // 000000010398: D0480030 0003CFE7
	v_add3_u32 v55, v231, v58, 1                               // 0000000103A0: D1FF0037 020675E7
	v_cndmask_b32_e64 v61, v55, v57, s[48:49]                  // 0000000103A8: D100003D 00C27337
	v_perm_b32 v211, v61, v60, s56                             // 0000000103B0: D1ED00D3 00E2793D
	s_mov_b32 s56, 0x7060302                                   // 0000000103B8: BEB800FF 07060302
	v_cmp_u_f32_e64 s[48:49], v232, v232                       // 0000000103C0: D0480030 0003D1E8
	v_add3_u32 v55, v232, v58, 1                               // 0000000103C8: D1FF0037 020675E8
	v_cndmask_b32_e64 v60, v55, v57, s[48:49]                  // 0000000103D0: D100003C 00C27337
	v_cmp_u_f32_e64 s[48:49], v233, v233                       // 0000000103D8: D0480030 0003D3E9
	v_add3_u32 v55, v233, v58, 1                               // 0000000103E0: D1FF0037 020675E9
	v_cndmask_b32_e64 v61, v55, v57, s[48:49]                  // 0000000103E8: D100003D 00C27337
	v_perm_b32 v212, v61, v60, s56                             // 0000000103F0: D1ED00D4 00E2793D
	s_mov_b32 s56, 0x7060302                                   // 0000000103F8: BEB800FF 07060302
	v_cmp_u_f32_e64 s[48:49], v234, v234                       // 000000010400: D0480030 0003D5EA
	v_add3_u32 v55, v234, v58, 1                               // 000000010408: D1FF0037 020675EA
	v_cndmask_b32_e64 v60, v55, v57, s[48:49]                  // 000000010410: D100003C 00C27337
	v_cmp_u_f32_e64 s[48:49], v235, v235                       // 000000010418: D0480030 0003D7EB
	v_add3_u32 v55, v235, v58, 1                               // 000000010420: D1FF0037 020675EB
	v_cndmask_b32_e64 v61, v55, v57, s[48:49]                  // 000000010428: D100003D 00C27337
	v_perm_b32 v213, v61, v60, s56                             // 000000010430: D1ED00D5 00E2793D
	s_mov_b32 s56, 0x7060302                                   // 000000010438: BEB800FF 07060302
	v_cmp_u_f32_e64 s[48:49], v236, v236                       // 000000010440: D0480030 0003D9EC
	v_add3_u32 v55, v236, v58, 1                               // 000000010448: D1FF0037 020675EC
	v_cndmask_b32_e64 v60, v55, v57, s[48:49]                  // 000000010450: D100003C 00C27337
	v_cmp_u_f32_e64 s[48:49], v237, v237                       // 000000010458: D0480030 0003DBED
	v_add3_u32 v55, v237, v58, 1                               // 000000010460: D1FF0037 020675ED
	v_cndmask_b32_e64 v61, v55, v57, s[48:49]                  // 000000010468: D100003D 00C27337
	v_perm_b32 v214, v61, v60, s56                             // 000000010470: D1ED00D6 00E2793D
	s_mov_b32 s56, 0x7060302                                   // 000000010478: BEB800FF 07060302
	v_cmp_u_f32_e64 s[48:49], v238, v238                       // 000000010480: D0480030 0003DDEE
	v_add3_u32 v55, v238, v58, 1                               // 000000010488: D1FF0037 020675EE
	v_cndmask_b32_e64 v60, v55, v57, s[48:49]                  // 000000010490: D100003C 00C27337
	v_cmp_u_f32_e64 s[48:49], v239, v239                       // 000000010498: D0480030 0003DFEF
	v_add3_u32 v55, v239, v58, 1                               // 0000000104A0: D1FF0037 020675EF
	v_cndmask_b32_e64 v61, v55, v57, s[48:49]                  // 0000000104A8: D100003D 00C27337
	v_perm_b32 v215, v61, v60, s56                             // 0000000104B0: D1ED00D7 00E2793D
	s_mov_b32 s56, 0x7060302                                   // 0000000104B8: BEB800FF 07060302
	v_cmp_u_f32_e64 s[48:49], v240, v240                       // 0000000104C0: D0480030 0003E1F0
	v_add3_u32 v55, v240, v58, 1                               // 0000000104C8: D1FF0037 020675F0
	v_cndmask_b32_e64 v60, v55, v57, s[48:49]                  // 0000000104D0: D100003C 00C27337
	v_cmp_u_f32_e64 s[48:49], v241, v241                       // 0000000104D8: D0480030 0003E3F1
	v_add3_u32 v55, v241, v58, 1                               // 0000000104E0: D1FF0037 020675F1
	v_cndmask_b32_e64 v61, v55, v57, s[48:49]                  // 0000000104E8: D100003D 00C27337
	v_perm_b32 v216, v61, v60, s56                             // 0000000104F0: D1ED00D8 00E2793D
	s_mov_b32 s56, 0x7060302                                   // 0000000104F8: BEB800FF 07060302
	v_cmp_u_f32_e64 s[48:49], v242, v242                       // 000000010500: D0480030 0003E5F2
	v_add3_u32 v55, v242, v58, 1                               // 000000010508: D1FF0037 020675F2
	v_cndmask_b32_e64 v60, v55, v57, s[48:49]                  // 000000010510: D100003C 00C27337
	v_cmp_u_f32_e64 s[48:49], v243, v243                       // 000000010518: D0480030 0003E7F3
	v_add3_u32 v55, v243, v58, 1                               // 000000010520: D1FF0037 020675F3
	v_cndmask_b32_e64 v61, v55, v57, s[48:49]                  // 000000010528: D100003D 00C27337
	v_perm_b32 v217, v61, v60, s56                             // 000000010530: D1ED00D9 00E2793D
	s_mov_b32 s56, 0x7060302                                   // 000000010538: BEB800FF 07060302
	v_cmp_u_f32_e64 s[48:49], v244, v244                       // 000000010540: D0480030 0003E9F4
	v_add3_u32 v55, v244, v58, 1                               // 000000010548: D1FF0037 020675F4
	v_cndmask_b32_e64 v60, v55, v57, s[48:49]                  // 000000010550: D100003C 00C27337
	v_cmp_u_f32_e64 s[48:49], v245, v245                       // 000000010558: D0480030 0003EBF5
	v_add3_u32 v55, v245, v58, 1                               // 000000010560: D1FF0037 020675F5
	v_cndmask_b32_e64 v61, v55, v57, s[48:49]                  // 000000010568: D100003D 00C27337
	v_perm_b32 v218, v61, v60, s56                             // 000000010570: D1ED00DA 00E2793D
	s_mov_b32 s56, 0x7060302                                   // 000000010578: BEB800FF 07060302
	v_cmp_u_f32_e64 s[48:49], v246, v246                       // 000000010580: D0480030 0003EDF6
	v_add3_u32 v55, v246, v58, 1                               // 000000010588: D1FF0037 020675F6
	v_cndmask_b32_e64 v60, v55, v57, s[48:49]                  // 000000010590: D100003C 00C27337
	v_cmp_u_f32_e64 s[48:49], v247, v247                       // 000000010598: D0480030 0003EFF7
	v_add3_u32 v55, v247, v58, 1                               // 0000000105A0: D1FF0037 020675F7
	v_cndmask_b32_e64 v61, v55, v57, s[48:49]                  // 0000000105A8: D100003D 00C27337
	v_perm_b32 v219, v61, v60, s56                             // 0000000105B0: D1ED00DB 00E2793D
	s_mov_b32 s56, 0x7060302                                   // 0000000105B8: BEB800FF 07060302
	v_cmp_u_f32_e64 s[48:49], v248, v248                       // 0000000105C0: D0480030 0003F1F8
	v_add3_u32 v55, v248, v58, 1                               // 0000000105C8: D1FF0037 020675F8
	v_cndmask_b32_e64 v60, v55, v57, s[48:49]                  // 0000000105D0: D100003C 00C27337
	v_cmp_u_f32_e64 s[48:49], v249, v249                       // 0000000105D8: D0480030 0003F3F9
	v_add3_u32 v55, v249, v58, 1                               // 0000000105E0: D1FF0037 020675F9
	v_cndmask_b32_e64 v61, v55, v57, s[48:49]                  // 0000000105E8: D100003D 00C27337
	v_perm_b32 v220, v61, v60, s56                             // 0000000105F0: D1ED00DC 00E2793D
	s_mov_b32 s56, 0x7060302                                   // 0000000105F8: BEB800FF 07060302
	v_cmp_u_f32_e64 s[48:49], v250, v250                       // 000000010600: D0480030 0003F5FA
	v_add3_u32 v55, v250, v58, 1                               // 000000010608: D1FF0037 020675FA
	v_cndmask_b32_e64 v60, v55, v57, s[48:49]                  // 000000010610: D100003C 00C27337
	v_cmp_u_f32_e64 s[48:49], v251, v251                       // 000000010618: D0480030 0003F7FB
	v_add3_u32 v55, v251, v58, 1                               // 000000010620: D1FF0037 020675FB
	v_cndmask_b32_e64 v61, v55, v57, s[48:49]                  // 000000010628: D100003D 00C27337
	v_perm_b32 v221, v61, v60, s56                             // 000000010630: D1ED00DD 00E2793D
	s_mov_b32 s56, 0x7060302                                   // 000000010638: BEB800FF 07060302
	v_cmp_u_f32_e64 s[48:49], v252, v252                       // 000000010640: D0480030 0003F9FC
	v_add3_u32 v55, v252, v58, 1                               // 000000010648: D1FF0037 020675FC
	v_cndmask_b32_e64 v60, v55, v57, s[48:49]                  // 000000010650: D100003C 00C27337
	v_cmp_u_f32_e64 s[48:49], v253, v253                       // 000000010658: D0480030 0003FBFD
	v_add3_u32 v55, v253, v58, 1                               // 000000010660: D1FF0037 020675FD
	v_cndmask_b32_e64 v61, v55, v57, s[48:49]                  // 000000010668: D100003D 00C27337
	v_perm_b32 v222, v61, v60, s56                             // 000000010670: D1ED00DE 00E2793D
	s_mov_b32 s56, 0x7060302                                   // 000000010678: BEB800FF 07060302
	v_cmp_u_f32_e64 s[48:49], v254, v254                       // 000000010680: D0480030 0003FDFE
	v_add3_u32 v55, v254, v58, 1                               // 000000010688: D1FF0037 020675FE
	v_cndmask_b32_e64 v60, v55, v57, s[48:49]                  // 000000010690: D100003C 00C27337
	v_cmp_u_f32_e64 s[48:49], v255, v255                       // 000000010698: D0480030 0003FFFF
	v_add3_u32 v55, v255, v58, 1                               // 0000000106A0: D1FF0037 020675FF
	v_cndmask_b32_e64 v61, v55, v57, s[48:49]                  // 0000000106A8: D100003D 00C27337
	v_perm_b32 v223, v61, v60, s56                             // 0000000106B0: D1ED00DF 00E2793D
	ds_write_b64 v4, v[192:193]                                // 0000000106B8: D89A0000 0000C004
	ds_write_b64 v4, v[194:195] offset:8704                    // 0000000106C0: D89A2200 0000C204
	ds_write_b64 v5, v[196:197]                                // 0000000106C8: D89A0000 0000C405
	ds_write_b64 v5, v[198:199] offset:8704                    // 0000000106D0: D89A2200 0000C605
	ds_write_b64 v4, v[200:201] offset:2176                    // 0000000106D8: D89A0880 0000C804
	ds_write_b64 v4, v[202:203] offset:10880                   // 0000000106E0: D89A2A80 0000CA04
	ds_write_b64 v5, v[204:205] offset:2176                    // 0000000106E8: D89A0880 0000CC05
	ds_write_b64 v5, v[206:207] offset:10880                   // 0000000106F0: D89A2A80 0000CE05
	ds_write_b64 v4, v[208:209] offset:4352                    // 0000000106F8: D89A1100 0000D004
	ds_write_b64 v4, v[210:211] offset:13056                   // 000000010700: D89A3300 0000D204
	ds_write_b64 v5, v[212:213] offset:4352                    // 000000010708: D89A1100 0000D405
	ds_write_b64 v5, v[214:215] offset:13056                   // 000000010710: D89A3300 0000D605
	ds_write_b64 v4, v[216:217] offset:6528                    // 000000010718: D89A1980 0000D804
	ds_write_b64 v4, v[218:219] offset:15232                   // 000000010720: D89A3B80 0000DA04
	ds_write_b64 v5, v[220:221] offset:6528                    // 000000010728: D89A1980 0000DC05
	ds_write_b64 v5, v[222:223] offset:15232                   // 000000010730: D89A3B80 0000DE05
	s_waitcnt lgkmcnt(0)                                       // 000000010738: BF8CC07F
	s_barrier                                                  // 00000001073C: BF8A0000
	ds_read_b32 v64, v6                                        // 000000010740: D86C0000 40000006
	ds_read_b32 v65, v6 offset:4352                            // 000000010748: D86C1100 41000006
	ds_read_b32 v66, v6 offset:32                              // 000000010750: D86C0020 42000006
	ds_read_b32 v67, v6 offset:4384                            // 000000010758: D86C1120 43000006
	ds_read_b32 v68, v6 offset:64                              // 000000010760: D86C0040 44000006
	ds_read_b32 v69, v6 offset:4416                            // 000000010768: D86C1140 45000006
	ds_read_b32 v70, v6 offset:96                              // 000000010770: D86C0060 46000006
	ds_read_b32 v71, v6 offset:4448                            // 000000010778: D86C1160 47000006
	ds_read_b32 v72, v6 offset:8704                            // 000000010780: D86C2200 48000006
	ds_read_b32 v73, v6 offset:13056                           // 000000010788: D86C3300 49000006
	ds_read_b32 v74, v6 offset:8736                            // 000000010790: D86C2220 4A000006
	ds_read_b32 v75, v6 offset:13088                           // 000000010798: D86C3320 4B000006
	ds_read_b32 v76, v6 offset:8768                            // 0000000107A0: D86C2240 4C000006
	ds_read_b32 v77, v6 offset:13120                           // 0000000107A8: D86C3340 4D000006
	ds_read_b32 v78, v6 offset:8800                            // 0000000107B0: D86C2260 4E000006
	ds_read_b32 v79, v6 offset:13152                           // 0000000107B8: D86C3360 4F000006
	ds_read_b32 v80, v7                                        // 0000000107C0: D86C0000 50000007
	ds_read_b32 v81, v7 offset:4352                            // 0000000107C8: D86C1100 51000007
	ds_read_b32 v82, v7 offset:32                              // 0000000107D0: D86C0020 52000007
	ds_read_b32 v83, v7 offset:4384                            // 0000000107D8: D86C1120 53000007
	ds_read_b32 v84, v7 offset:64                              // 0000000107E0: D86C0040 54000007
	ds_read_b32 v85, v7 offset:4416                            // 0000000107E8: D86C1140 55000007
	ds_read_b32 v86, v7 offset:96                              // 0000000107F0: D86C0060 56000007
	ds_read_b32 v87, v7 offset:4448                            // 0000000107F8: D86C1160 57000007
	ds_read_b32 v88, v7 offset:8704                            // 000000010800: D86C2200 58000007
	ds_read_b32 v89, v7 offset:13056                           // 000000010808: D86C3300 59000007
	ds_read_b32 v90, v7 offset:8736                            // 000000010810: D86C2220 5A000007
	ds_read_b32 v91, v7 offset:13088                           // 000000010818: D86C3320 5B000007
	ds_read_b32 v92, v7 offset:8768                            // 000000010820: D86C2240 5C000007
	ds_read_b32 v93, v7 offset:13120                           // 000000010828: D86C3340 5D000007
	ds_read_b32 v94, v7 offset:8800                            // 000000010830: D86C2260 5E000007
	ds_read_b32 v95, v7 offset:13152                           // 000000010838: D86C3360 5F000007
	s_waitcnt lgkmcnt(0)                                       // 000000010840: BF8CC07F
	s_setvskip s20, 0                                          // 000000010844: BF108014
	global_atomic_pk_add_bf16 v96, v64, s[8:9]                 // 000000010848: DD488000 00084060
	s_setvskip 0, 0                                            // 000000010850: BF108080
	s_setvskip s20, 0                                          // 000000010854: BF108014
	global_atomic_pk_add_bf16 v96, v65, s[8:9] offset:256      // 000000010858: DD488100 00084160
	s_setvskip 0, 0                                            // 000000010860: BF108080
	s_setvskip s20, 1                                          // 000000010864: BF108114
	global_atomic_pk_add_bf16 v98, v66, s[8:9]                 // 000000010868: DD488000 00084262
	s_setvskip 0, 0                                            // 000000010870: BF108080
	s_setvskip s20, 1                                          // 000000010874: BF108114
	global_atomic_pk_add_bf16 v98, v67, s[8:9] offset:256      // 000000010878: DD488100 00084362
	s_setvskip 0, 0                                            // 000000010880: BF108080
	s_setvskip s20, 2                                          // 000000010884: BF108214
	global_atomic_pk_add_bf16 v100, v68, s[8:9]                // 000000010888: DD488000 00084464
	s_setvskip 0, 0                                            // 000000010890: BF108080
	s_setvskip s20, 2                                          // 000000010894: BF108214
	global_atomic_pk_add_bf16 v100, v69, s[8:9] offset:256     // 000000010898: DD488100 00084564
	s_setvskip 0, 0                                            // 0000000108A0: BF108080
	s_setvskip s20, 3                                          // 0000000108A4: BF108314
	global_atomic_pk_add_bf16 v102, v70, s[8:9]                // 0000000108A8: DD488000 00084666
	s_setvskip 0, 0                                            // 0000000108B0: BF108080
	s_setvskip s20, 3                                          // 0000000108B4: BF108314
	global_atomic_pk_add_bf16 v102, v71, s[8:9] offset:256     // 0000000108B8: DD488100 00084766
	s_setvskip 0, 0                                            // 0000000108C0: BF108080
	s_setvskip s20, 4                                          // 0000000108C4: BF108414
	global_atomic_pk_add_bf16 v104, v72, s[8:9]                // 0000000108C8: DD488000 00084868
	s_setvskip 0, 0                                            // 0000000108D0: BF108080
	s_setvskip s20, 4                                          // 0000000108D4: BF108414
	global_atomic_pk_add_bf16 v104, v73, s[8:9] offset:256     // 0000000108D8: DD488100 00084968
	s_setvskip 0, 0                                            // 0000000108E0: BF108080
	s_setvskip s20, 5                                          // 0000000108E4: BF108514
	global_atomic_pk_add_bf16 v106, v74, s[8:9]                // 0000000108E8: DD488000 00084A6A
	s_setvskip 0, 0                                            // 0000000108F0: BF108080
	s_setvskip s20, 5                                          // 0000000108F4: BF108514
	global_atomic_pk_add_bf16 v106, v75, s[8:9] offset:256     // 0000000108F8: DD488100 00084B6A
	s_setvskip 0, 0                                            // 000000010900: BF108080
	s_setvskip s20, 6                                          // 000000010904: BF108614
	global_atomic_pk_add_bf16 v108, v76, s[8:9]                // 000000010908: DD488000 00084C6C
	s_setvskip 0, 0                                            // 000000010910: BF108080
	s_setvskip s20, 6                                          // 000000010914: BF108614
	global_atomic_pk_add_bf16 v108, v77, s[8:9] offset:256     // 000000010918: DD488100 00084D6C
	s_setvskip 0, 0                                            // 000000010920: BF108080
	s_setvskip s20, 7                                          // 000000010924: BF108714
	global_atomic_pk_add_bf16 v110, v78, s[8:9]                // 000000010928: DD488000 00084E6E
	s_setvskip 0, 0                                            // 000000010930: BF108080
	s_setvskip s20, 7                                          // 000000010934: BF108714
	global_atomic_pk_add_bf16 v110, v79, s[8:9] offset:256     // 000000010938: DD488100 00084F6E
	s_setvskip 0, 0                                            // 000000010940: BF108080
	s_setvskip s20, 8                                          // 000000010944: BF108814
	global_atomic_pk_add_bf16 v112, v80, s[8:9]                // 000000010948: DD488000 00085070
	s_setvskip 0, 0                                            // 000000010950: BF108080
	s_setvskip s20, 8                                          // 000000010954: BF108814
	global_atomic_pk_add_bf16 v112, v81, s[8:9] offset:256     // 000000010958: DD488100 00085170
	s_setvskip 0, 0                                            // 000000010960: BF108080
	s_setvskip s20, 9                                          // 000000010964: BF108914
	global_atomic_pk_add_bf16 v114, v82, s[8:9]                // 000000010968: DD488000 00085272
	s_setvskip 0, 0                                            // 000000010970: BF108080
	s_setvskip s20, 9                                          // 000000010974: BF108914
	global_atomic_pk_add_bf16 v114, v83, s[8:9] offset:256     // 000000010978: DD488100 00085372
	s_setvskip 0, 0                                            // 000000010980: BF108080
	s_setvskip s20, 10                                         // 000000010984: BF108A14
	global_atomic_pk_add_bf16 v116, v84, s[8:9]                // 000000010988: DD488000 00085474
	s_setvskip 0, 0                                            // 000000010990: BF108080
	s_setvskip s20, 10                                         // 000000010994: BF108A14
	global_atomic_pk_add_bf16 v116, v85, s[8:9] offset:256     // 000000010998: DD488100 00085574
	s_setvskip 0, 0                                            // 0000000109A0: BF108080
	s_setvskip s20, 11                                         // 0000000109A4: BF108B14
	global_atomic_pk_add_bf16 v118, v86, s[8:9]                // 0000000109A8: DD488000 00085676
	s_setvskip 0, 0                                            // 0000000109B0: BF108080
	s_setvskip s20, 11                                         // 0000000109B4: BF108B14
	global_atomic_pk_add_bf16 v118, v87, s[8:9] offset:256     // 0000000109B8: DD488100 00085776
	s_setvskip 0, 0                                            // 0000000109C0: BF108080
	s_setvskip s20, 12                                         // 0000000109C4: BF108C14
	global_atomic_pk_add_bf16 v120, v88, s[8:9]                // 0000000109C8: DD488000 00085878
	s_setvskip 0, 0                                            // 0000000109D0: BF108080
	s_setvskip s20, 12                                         // 0000000109D4: BF108C14
	global_atomic_pk_add_bf16 v120, v89, s[8:9] offset:256     // 0000000109D8: DD488100 00085978
	s_setvskip 0, 0                                            // 0000000109E0: BF108080
	s_setvskip s20, 13                                         // 0000000109E4: BF108D14
	global_atomic_pk_add_bf16 v122, v90, s[8:9]                // 0000000109E8: DD488000 00085A7A
	s_setvskip 0, 0                                            // 0000000109F0: BF108080
	s_setvskip s20, 13                                         // 0000000109F4: BF108D14
	global_atomic_pk_add_bf16 v122, v91, s[8:9] offset:256     // 0000000109F8: DD488100 00085B7A
	s_setvskip 0, 0                                            // 000000010A00: BF108080
	s_setvskip s20, 14                                         // 000000010A04: BF108E14
	global_atomic_pk_add_bf16 v124, v92, s[8:9]                // 000000010A08: DD488000 00085C7C
	s_setvskip 0, 0                                            // 000000010A10: BF108080
	s_setvskip s20, 14                                         // 000000010A14: BF108E14
	global_atomic_pk_add_bf16 v124, v93, s[8:9] offset:256     // 000000010A18: DD488100 00085D7C
	s_setvskip 0, 0                                            // 000000010A20: BF108080
	s_setvskip s20, 15                                         // 000000010A24: BF108F14
	global_atomic_pk_add_bf16 v126, v94, s[8:9]                // 000000010A28: DD488000 00085E7E
	s_setvskip 0, 0                                            // 000000010A30: BF108080
	s_setvskip s20, 15                                         // 000000010A34: BF108F14
	global_atomic_pk_add_bf16 v126, v95, s[8:9] offset:256     // 000000010A38: DD488100 00085F7E
	s_setvskip 0, 0                                            // 000000010A40: BF108080
	s_add_u32 s8, s55, s8                                      // 000000010A44: 80080837
	s_addc_u32 s9, 0, s9                                       // 000000010A48: 82090980
	s_addk_i32 s76, 0x100                                      // 000000010A4C: B74C0100
	s_cmp_lt_i32 s76, s77                                      // 000000010A50: BF044D4C
	s_cbranch_scc0 label_1DA7                                  // 000000010A54: BF84E691
	s_branch label_2CE0                                        // 000000010A58: BF82F5C9

0000000000010a5c <label_3717>:
	s_waitcnt vmcnt(0) expcnt(0) lgkmcnt(0)                    // 000000010A5C: BF8C0000
	s_add_u32 s101, s101, 1                                    // 000000010A60: 80658165
	s_cmp_eq_u32 s59, 0                                        // 000000010A64: BF06803B
	s_cbranch_scc0 label_0039                                  // 000000010A68: BF84C91E

0000000000010a6c <label_371B>:
	s_waitcnt vmcnt(0) expcnt(0) lgkmcnt(0)                    // 000000010A6C: BF8C0000
	s_endpgm                                                   // 000000010A70: BF810000
